;; amdgpu-corpus repo=ROCm/rocFFT kind=compiled arch=gfx1030 opt=O3
	.text
	.amdgcn_target "amdgcn-amd-amdhsa--gfx1030"
	.amdhsa_code_object_version 6
	.protected	bluestein_single_back_len663_dim1_sp_op_CI_CI ; -- Begin function bluestein_single_back_len663_dim1_sp_op_CI_CI
	.globl	bluestein_single_back_len663_dim1_sp_op_CI_CI
	.p2align	8
	.type	bluestein_single_back_len663_dim1_sp_op_CI_CI,@function
bluestein_single_back_len663_dim1_sp_op_CI_CI: ; @bluestein_single_back_len663_dim1_sp_op_CI_CI
; %bb.0:
	s_load_dwordx4 s[0:3], s[4:5], 0x28
	v_mul_u32_u24_e32 v1, 0x506, v0
	v_mov_b32_e32 v77, 0
	v_lshrrev_b32_e32 v1, 16, v1
	v_add_nc_u32_e32 v76, s6, v1
	s_waitcnt lgkmcnt(0)
	v_cmp_gt_u64_e32 vcc_lo, s[0:1], v[76:77]
	s_and_saveexec_b32 s0, vcc_lo
	s_cbranch_execz .LBB0_23
; %bb.1:
	s_clause 0x1
	s_load_dwordx2 s[12:13], s[4:5], 0x0
	s_load_dwordx2 s[14:15], s[4:5], 0x38
	v_mul_lo_u16 v1, v1, 51
	v_sub_nc_u16 v0, v0, v1
	v_and_b32_e32 v98, 0xffff, v0
	v_cmp_gt_u16_e32 vcc_lo, 39, v0
	v_lshlrev_b32_e32 v97, 3, v98
	s_and_saveexec_b32 s1, vcc_lo
	s_cbranch_execz .LBB0_3
; %bb.2:
	s_load_dwordx2 s[6:7], s[4:5], 0x18
	s_waitcnt lgkmcnt(0)
	v_add_co_u32 v22, s0, s12, v97
	v_add_co_ci_u32_e64 v23, null, s13, 0, s0
	v_add_nc_u32_e32 v72, 0x800, v97
	v_add_co_u32 v20, s0, 0x800, v22
	v_add_co_ci_u32_e64 v21, s0, 0, v23, s0
	v_add_co_u32 v22, s0, 0x1000, v22
	v_add_co_ci_u32_e64 v23, s0, 0, v23, s0
	v_add_nc_u32_e32 v73, 0x1000, v97
	s_load_dwordx4 s[8:11], s[6:7], 0x0
	s_waitcnt lgkmcnt(0)
	v_mad_u64_u32 v[0:1], null, s10, v76, 0
	v_mad_u64_u32 v[2:3], null, s8, v98, 0
	s_mul_i32 s6, s9, 0x138
	s_mul_hi_u32 s7, s8, 0x138
	s_add_i32 s7, s7, s6
	v_mad_u64_u32 v[4:5], null, s11, v76, v[1:2]
	s_clause 0x3
	global_load_dwordx2 v[5:6], v97, s[12:13]
	global_load_dwordx2 v[7:8], v97, s[12:13] offset:312
	global_load_dwordx2 v[9:10], v97, s[12:13] offset:624
	;; [unrolled: 1-line block ×3, first 2 shown]
	v_mad_u64_u32 v[13:14], null, s9, v98, v[3:4]
	v_mov_b32_e32 v1, v4
	s_clause 0xa
	global_load_dwordx2 v[14:15], v97, s[12:13] offset:1248
	global_load_dwordx2 v[16:17], v97, s[12:13] offset:1560
	;; [unrolled: 1-line block ×3, first 2 shown]
	global_load_dwordx2 v[24:25], v[20:21], off offset:136
	global_load_dwordx2 v[26:27], v[20:21], off offset:448
	;; [unrolled: 1-line block ×8, first 2 shown]
	v_lshlrev_b64 v[0:1], 3, v[0:1]
	v_mov_b32_e32 v3, v13
	v_add_nc_u32_e32 v13, 0x400, v97
	v_add_co_u32 v0, s0, s2, v0
	v_lshlrev_b64 v[2:3], 3, v[2:3]
	v_add_co_ci_u32_e64 v1, s0, s3, v1, s0
	s_mul_i32 s2, s8, 0x138
	v_add_co_u32 v0, s0, v0, v2
	v_add_co_ci_u32_e64 v1, s0, v1, v3, s0
	v_add_co_u32 v2, s0, v0, s2
	v_add_co_ci_u32_e64 v3, s0, s7, v1, s0
	;; [unrolled: 2-line block ×5, first 2 shown]
	s_clause 0x3
	global_load_dwordx2 v[0:1], v[0:1], off
	global_load_dwordx2 v[2:3], v[2:3], off
	;; [unrolled: 1-line block ×4, first 2 shown]
	v_add_co_u32 v44, s0, v42, s2
	v_add_co_ci_u32_e64 v45, s0, s7, v43, s0
	global_load_dwordx2 v[42:43], v[42:43], off
	v_add_co_u32 v46, s0, v44, s2
	v_add_co_ci_u32_e64 v47, s0, s7, v45, s0
	global_load_dwordx2 v[44:45], v[44:45], off
	;; [unrolled: 3-line block ×12, first 2 shown]
	s_clause 0x1
	global_load_dwordx2 v[68:69], v[22:23], off offset:584
	global_load_dwordx2 v[22:23], v[22:23], off offset:896
	global_load_dwordx2 v[66:67], v[66:67], off
	s_waitcnt vmcnt(18)
	v_mul_f32_e32 v71, v0, v6
	v_mul_f32_e32 v70, v1, v6
	s_waitcnt vmcnt(17)
	v_mul_f32_e32 v4, v3, v8
	s_waitcnt vmcnt(16)
	v_mul_f32_e32 v6, v32, v10
	v_fma_f32 v71, v1, v5, -v71
	v_fmac_f32_e32 v70, v0, v5
	v_mul_f32_e32 v1, v2, v8
	v_fmac_f32_e32 v4, v2, v7
	v_mul_f32_e32 v0, v33, v10
	s_waitcnt vmcnt(15)
	v_mul_f32_e32 v2, v39, v12
	v_mul_f32_e32 v8, v38, v12
	v_fma_f32 v5, v3, v7, -v1
	v_fma_f32 v1, v33, v9, -v6
	v_fmac_f32_e32 v0, v32, v9
	v_fmac_f32_e32 v2, v38, v11
	v_fma_f32 v3, v39, v11, -v8
	s_waitcnt vmcnt(14)
	v_mul_f32_e32 v6, v43, v15
	v_mul_f32_e32 v7, v42, v15
	ds_write2_b64 v97, v[70:71], v[4:5] offset1:39
	s_waitcnt vmcnt(13)
	v_mul_f32_e32 v4, v45, v17
	ds_write2_b64 v97, v[0:1], v[2:3] offset0:78 offset1:117
	v_mul_f32_e32 v1, v44, v17
	s_waitcnt vmcnt(12)
	v_mul_f32_e32 v0, v47, v19
	v_mul_f32_e32 v3, v46, v19
	s_waitcnt vmcnt(11)
	v_mul_f32_e32 v2, v49, v25
	v_mul_f32_e32 v8, v48, v25
	v_fmac_f32_e32 v6, v42, v14
	v_fma_f32 v7, v43, v14, -v7
	v_fmac_f32_e32 v4, v44, v16
	v_fma_f32 v5, v45, v16, -v1
	;; [unrolled: 2-line block ×4, first 2 shown]
	ds_write2_b64 v97, v[6:7], v[4:5] offset0:156 offset1:195
	s_waitcnt vmcnt(10)
	v_mul_f32_e32 v8, v51, v27
	v_mul_f32_e32 v9, v50, v27
	s_waitcnt vmcnt(9)
	v_mul_f32_e32 v4, v53, v29
	ds_write2_b64 v13, v[0:1], v[2:3] offset0:106 offset1:145
	v_mul_f32_e32 v1, v52, v29
	s_waitcnt vmcnt(8)
	v_mul_f32_e32 v3, v54, v31
	v_mul_f32_e32 v0, v55, v31
	s_waitcnt vmcnt(7)
	v_mul_f32_e32 v7, v56, v35
	v_mul_f32_e32 v2, v57, v35
	v_fma_f32 v5, v53, v28, -v1
	v_fma_f32 v1, v55, v30, -v3
	v_fmac_f32_e32 v8, v50, v26
	s_waitcnt vmcnt(6)
	v_mul_f32_e32 v6, v59, v37
	v_fma_f32 v3, v57, v34, -v7
	v_mul_f32_e32 v7, v58, v37
	v_fma_f32 v9, v51, v26, -v9
	v_fmac_f32_e32 v4, v52, v28
	s_waitcnt vmcnt(5)
	v_mul_f32_e32 v10, v61, v21
	v_mul_f32_e32 v11, v60, v21
	v_fmac_f32_e32 v0, v54, v30
	v_fmac_f32_e32 v2, v56, v34
	;; [unrolled: 1-line block ×3, first 2 shown]
	s_waitcnt vmcnt(4)
	v_mul_f32_e32 v12, v63, v41
	v_mul_f32_e32 v13, v62, v41
	v_fma_f32 v7, v59, v36, -v7
	s_waitcnt vmcnt(2)
	v_mul_f32_e32 v14, v65, v69
	v_mul_f32_e32 v15, v64, v69
	s_waitcnt vmcnt(0)
	v_mul_f32_e32 v16, v67, v23
	v_mul_f32_e32 v17, v66, v23
	v_fmac_f32_e32 v10, v60, v20
	v_fma_f32 v11, v61, v20, -v11
	v_fmac_f32_e32 v12, v62, v40
	v_fma_f32 v13, v63, v40, -v13
	;; [unrolled: 2-line block ×4, first 2 shown]
	ds_write2_b64 v72, v[8:9], v[4:5] offset0:56 offset1:95
	ds_write2_b64 v72, v[0:1], v[2:3] offset0:134 offset1:173
	;; [unrolled: 1-line block ×4, first 2 shown]
	ds_write_b64 v97, v[16:17] offset:4992
.LBB0_3:
	s_or_b32 exec_lo, exec_lo, s1
	s_clause 0x1
	s_load_dwordx2 s[0:1], s[4:5], 0x20
	s_load_dwordx2 s[2:3], s[4:5], 0x8
	v_mov_b32_e32 v4, 0
	v_mov_b32_e32 v5, 0
	s_waitcnt lgkmcnt(0)
	s_barrier
	buffer_gl0_inv
                                        ; implicit-def: $vgpr22
                                        ; implicit-def: $vgpr16
                                        ; implicit-def: $vgpr12
                                        ; implicit-def: $vgpr8
                                        ; implicit-def: $vgpr0
                                        ; implicit-def: $vgpr30
                                        ; implicit-def: $vgpr26
                                        ; implicit-def: $vgpr34
	s_and_saveexec_b32 s4, vcc_lo
	s_cbranch_execz .LBB0_5
; %bb.4:
	v_add_nc_u32_e32 v0, 0x400, v97
	v_add_nc_u32_e32 v1, 0x800, v97
	;; [unrolled: 1-line block ×3, first 2 shown]
	ds_read2_b64 v[4:7], v97 offset1:39
	ds_read2_b64 v[32:35], v97 offset0:78 offset1:117
	ds_read2_b64 v[24:27], v97 offset0:156 offset1:195
	;; [unrolled: 1-line block ×7, first 2 shown]
	ds_read_b64 v[0:1], v97 offset:4992
.LBB0_5:
	s_or_b32 exec_lo, exec_lo, s4
	s_waitcnt lgkmcnt(0)
	v_sub_f32_e32 v68, v7, v1
	v_add_f32_e32 v36, v0, v6
	v_sub_f32_e32 v84, v6, v0
	v_sub_f32_e32 v81, v33, v11
	v_add_f32_e32 v37, v1, v7
	v_mul_f32_e32 v53, 0xbeb8f4ab, v68
	v_add_f32_e32 v38, v10, v32
	v_sub_f32_e32 v86, v32, v10
	v_mul_f32_e32 v55, 0xbeb8f4ab, v84
	v_mul_f32_e32 v52, 0xbf2c7751, v81
	v_fmamk_f32 v2, v36, 0x3f6eb680, v53
	v_sub_f32_e32 v94, v35, v9
	v_add_f32_e32 v39, v11, v33
	v_mul_f32_e32 v56, 0xbf2c7751, v86
	v_fma_f32 v3, 0x3f6eb680, v37, -v55
	v_fmamk_f32 v41, v38, 0x3f3d2fb0, v52
	v_add_f32_e32 v2, v2, v4
	v_add_f32_e32 v40, v8, v34
	v_mul_f32_e32 v54, 0xbf65296c, v94
	v_sub_f32_e32 v95, v34, v8
	v_fma_f32 v42, 0x3f3d2fb0, v39, -v56
	v_add_f32_e32 v3, v3, v5
	v_add_f32_e32 v2, v41, v2
	;; [unrolled: 1-line block ×3, first 2 shown]
	v_sub_f32_e32 v99, v25, v15
	v_fmamk_f32 v43, v40, 0x3ee437d1, v54
	v_mul_f32_e32 v60, 0xbf65296c, v95
	v_sub_f32_e32 v100, v24, v14
	v_add_f32_e32 v3, v42, v3
	v_add_f32_e32 v42, v14, v24
	v_mul_f32_e32 v57, 0xbf7ee86f, v99
	v_add_f32_e32 v2, v43, v2
	v_fma_f32 v44, 0x3ee437d1, v41, -v60
	v_add_f32_e32 v43, v15, v25
	v_mul_f32_e32 v59, 0xbf7ee86f, v100
	v_sub_f32_e32 v101, v27, v13
	v_fmamk_f32 v45, v42, 0x3dbcf732, v57
	v_add_f32_e32 v3, v44, v3
	v_add_f32_e32 v44, v12, v26
	v_fma_f32 v46, 0x3dbcf732, v43, -v59
	v_mul_f32_e32 v58, 0xbf763a35, v101
	v_sub_f32_e32 v102, v26, v12
	v_add_f32_e32 v2, v45, v2
	v_sub_f32_e32 v103, v29, v19
	v_add_f32_e32 v3, v46, v3
	v_add_f32_e32 v46, v13, v27
	v_fmamk_f32 v47, v44, 0xbe8c1d8e, v58
	v_mul_f32_e32 v64, 0xbf763a35, v102
	v_sub_f32_e32 v104, v28, v18
	v_add_f32_e32 v45, v18, v28
	v_mul_f32_e32 v61, 0xbf4c4adb, v103
	v_add_f32_e32 v2, v47, v2
	v_fma_f32 v48, 0xbe8c1d8e, v46, -v64
	v_add_f32_e32 v47, v19, v29
	v_mul_f32_e32 v63, 0xbf4c4adb, v104
	v_sub_f32_e32 v105, v31, v17
	v_sub_f32_e32 v109, v30, v16
	v_fmamk_f32 v50, v45, 0xbf1a4643, v61
	v_add_f32_e32 v3, v48, v3
	v_fma_f32 v51, 0xbf1a4643, v47, -v63
	v_add_f32_e32 v48, v16, v30
	v_mul_f32_e32 v62, 0xbf06c442, v105
	v_add_f32_e32 v49, v17, v31
	v_mul_f32_e32 v66, 0xbf06c442, v109
	v_sub_f32_e32 v114, v21, v23
	v_add_f32_e32 v2, v50, v2
	v_add_f32_e32 v3, v51, v3
	v_fmamk_f32 v51, v48, 0xbf59a7d5, v62
	v_fma_f32 v67, 0xbf59a7d5, v49, -v66
	v_add_f32_e32 v50, v22, v20
	v_mul_f32_e32 v65, 0xbe3c28d5, v114
	v_mul_f32_e32 v75, 0xbf2c7751, v68
	;; [unrolled: 1-line block ×3, first 2 shown]
	v_add_f32_e32 v2, v51, v2
	v_add_f32_e32 v3, v67, v3
	v_fmamk_f32 v51, v50, 0xbf7ba420, v65
	v_fmamk_f32 v67, v36, 0x3f3d2fb0, v75
	v_mul_f32_e32 v82, 0xbf7ee86f, v81
	v_fma_f32 v69, 0x3f3d2fb0, v37, -v91
	v_mul_f32_e32 v93, 0xbf7ee86f, v86
	v_add_f32_e32 v77, v51, v2
	v_add_f32_e32 v2, v67, v4
	v_fmamk_f32 v51, v38, 0x3dbcf732, v82
	v_add_f32_e32 v67, v69, v5
	v_fma_f32 v69, 0x3dbcf732, v39, -v93
	v_mul_f32_e32 v83, 0xbf4c4adb, v94
	v_mul_f32_e32 v89, 0xbf4c4adb, v95
	v_add_f32_e32 v2, v51, v2
	v_mul_f32_e32 v74, 0xbe3c28d5, v99
	v_add_f32_e32 v67, v69, v67
	v_fmamk_f32 v69, v40, 0xbf1a4643, v83
	v_fma_f32 v70, 0xbf1a4643, v41, -v89
	v_mul_f32_e32 v90, 0xbe3c28d5, v100
	v_sub_f32_e32 v123, v20, v22
	v_mul_f32_e32 v71, 0x3f06c442, v101
	v_add_f32_e32 v2, v69, v2
	v_add_f32_e32 v69, v70, v67
	v_fmamk_f32 v70, v42, 0xbf7ba420, v74
	v_fma_f32 v72, 0xbf7ba420, v43, -v90
	v_mul_f32_e32 v92, 0x3f06c442, v102
	v_add_f32_e32 v51, v23, v21
	v_mul_f32_e32 v67, 0xbe3c28d5, v123
	v_add_f32_e32 v2, v70, v2
	v_add_f32_e32 v69, v72, v69
	v_fmamk_f32 v72, v44, 0xbf59a7d5, v71
	v_fma_f32 v73, 0xbf59a7d5, v46, -v92
	v_mul_f32_e32 v70, 0x3f763a35, v103
	v_mul_f32_e32 v87, 0x3f763a35, v104
	v_fma_f32 v78, 0xbf7ba420, v51, -v67
	v_add_f32_e32 v2, v72, v2
	v_add_f32_e32 v72, v73, v69
	v_fmamk_f32 v73, v45, 0xbe8c1d8e, v70
	v_fma_f32 v79, 0xbe8c1d8e, v47, -v87
	v_mul_f32_e32 v69, 0x3f65296c, v105
	v_mul_f32_e32 v106, 0xbf65296c, v68
	v_add_f32_e32 v78, v78, v3
	v_add_f32_e32 v2, v73, v2
	;; [unrolled: 1-line block ×3, first 2 shown]
	v_fmamk_f32 v72, v48, 0x3ee437d1, v69
	v_mul_f32_e32 v88, 0x3f65296c, v109
	v_fmamk_f32 v73, v36, 0x3ee437d1, v106
	v_mul_f32_e32 v108, 0xbf4c4adb, v81
	v_mul_f32_e32 v119, 0xbf65296c, v84
	v_add_f32_e32 v2, v72, v2
	v_fma_f32 v72, 0x3ee437d1, v49, -v88
	v_add_f32_e32 v73, v73, v4
	v_fmamk_f32 v79, v38, 0xbf1a4643, v108
	v_fma_f32 v80, 0x3ee437d1, v37, -v119
	v_mul_f32_e32 v120, 0xbf4c4adb, v86
	v_mul_f32_e32 v110, 0x3e3c28d5, v94
	v_add_f32_e32 v3, v72, v3
	v_add_f32_e32 v72, v79, v73
	;; [unrolled: 1-line block ×3, first 2 shown]
	v_fma_f32 v79, 0xbf1a4643, v39, -v120
	v_fmamk_f32 v80, v40, 0xbf7ba420, v110
	v_mul_f32_e32 v115, 0x3e3c28d5, v95
	v_mul_f32_e32 v111, 0x3f763a35, v99
	v_mul_f32_e32 v85, 0x3eb8f4ab, v114
	v_add_f32_e32 v73, v79, v73
	v_add_f32_e32 v72, v80, v72
	v_fma_f32 v79, 0xbf7ba420, v41, -v115
	v_fmamk_f32 v80, v42, 0xbe8c1d8e, v111
	v_mul_f32_e32 v116, 0x3f763a35, v100
	v_mul_f32_e32 v112, 0x3f2c7751, v101
	v_fmamk_f32 v96, v50, 0x3f6eb680, v85
	v_add_f32_e32 v73, v79, v73
	v_add_f32_e32 v72, v80, v72
	v_fma_f32 v80, 0xbe8c1d8e, v43, -v116
	v_fmamk_f32 v107, v44, 0x3f3d2fb0, v112
	v_mul_f32_e32 v117, 0x3f2c7751, v102
	v_mul_f32_e32 v113, 0xbeb8f4ab, v103
	v_add_f32_e32 v79, v96, v2
	v_add_f32_e32 v2, v80, v73
	;; [unrolled: 1-line block ×3, first 2 shown]
	v_fma_f32 v73, 0x3f3d2fb0, v46, -v117
	v_fmamk_f32 v80, v45, 0x3f6eb680, v113
	v_mul_f32_e32 v118, 0xbeb8f4ab, v104
	v_mul_f32_e32 v107, 0xbf7ee86f, v105
	;; [unrolled: 1-line block ×3, first 2 shown]
	v_add_f32_e32 v2, v73, v2
	v_add_f32_e32 v72, v80, v72
	v_fma_f32 v73, 0x3f6eb680, v47, -v118
	v_fmamk_f32 v80, v48, 0x3dbcf732, v107
	v_mul_f32_e32 v131, 0xbf7ee86f, v84
	v_mul_f32_e32 v128, 0xbe3c28d5, v81
	;; [unrolled: 1-line block ×3, first 2 shown]
	v_add_f32_e32 v2, v73, v2
	v_add_f32_e32 v72, v80, v72
	v_fmamk_f32 v73, v36, 0x3dbcf732, v126
	v_fma_f32 v80, 0x3dbcf732, v37, -v131
	v_mul_f32_e32 v122, 0xbf7ee86f, v109
	v_fmamk_f32 v121, v38, 0xbf7ba420, v128
	v_fma_f32 v124, 0xbf7ba420, v39, -v134
	v_add_f32_e32 v73, v73, v4
	v_add_f32_e32 v80, v80, v5
	v_mul_f32_e32 v129, 0x3f763a35, v94
	v_mul_f32_e32 v136, 0x3f763a35, v95
	v_fma_f32 v125, 0x3dbcf732, v49, -v122
	v_add_f32_e32 v73, v121, v73
	v_add_f32_e32 v80, v124, v80
	v_fmamk_f32 v121, v40, 0xbe8c1d8e, v129
	v_fma_f32 v124, 0xbe8c1d8e, v41, -v136
	v_mul_f32_e32 v130, 0x3eb8f4ab, v99
	v_mul_f32_e32 v137, 0x3eb8f4ab, v100
	v_add_f32_e32 v2, v125, v2
	v_add_f32_e32 v73, v121, v73
	;; [unrolled: 1-line block ×3, first 2 shown]
	v_fmamk_f32 v124, v42, 0x3f6eb680, v130
	v_fma_f32 v125, 0x3f6eb680, v43, -v137
	v_mul_f32_e32 v133, 0xbf65296c, v101
	v_mul_f32_e32 v138, 0xbf65296c, v102
	v_mul_f32_e32 v135, 0xbf06c442, v103
	v_add_f32_e32 v73, v124, v73
	v_add_f32_e32 v80, v125, v80
	v_fmamk_f32 v124, v44, 0x3ee437d1, v133
	v_fma_f32 v125, 0x3ee437d1, v46, -v138
	v_mul_f32_e32 v139, 0xbf06c442, v104
	v_mul_f32_e32 v127, 0x3f4c4adb, v105
	v_mul_f32_e32 v140, 0x3f4c4adb, v109
	v_add_f32_e32 v73, v124, v73
	v_add_f32_e32 v80, v125, v80
	;; [unrolled: 7-line block ×3, first 2 shown]
	v_fmamk_f32 v143, v48, 0xbf1a4643, v127
	v_fma_f32 v144, 0xbf1a4643, v49, -v140
	v_mul_f32_e32 v125, 0x3f2c7751, v114
	v_mul_f32_e32 v132, 0x3f2c7751, v123
	v_fma_f32 v141, 0x3f6eb680, v51, -v96
	v_fmamk_f32 v142, v50, 0xbf59a7d5, v121
	v_fma_f32 v145, 0xbf59a7d5, v51, -v124
	v_add_f32_e32 v143, v143, v73
	v_add_f32_e32 v144, v144, v80
	v_fmamk_f32 v146, v50, 0x3f3d2fb0, v125
	v_fma_f32 v147, 0x3f3d2fb0, v51, -v132
	v_add_f32_e32 v80, v141, v3
	v_add_f32_e32 v72, v142, v72
	;; [unrolled: 1-line block ×5, first 2 shown]
	s_barrier
	buffer_gl0_inv
	s_and_saveexec_b32 s4, vcc_lo
	s_cbranch_execz .LBB0_7
; %bb.6:
	v_add_f32_e32 v7, v7, v5
	v_add_f32_e32 v6, v6, v4
	v_mul_f32_e32 v145, 0xbe3c28d5, v84
	v_mul_f32_e32 v144, 0x3eb8f4ab, v86
	;; [unrolled: 1-line block ×3, first 2 shown]
	v_add_f32_e32 v7, v33, v7
	v_add_f32_e32 v6, v32, v6
	v_fmamk_f32 v146, v37, 0xbf7ba420, v145
	v_mul_f32_e32 v142, 0xbf06c442, v95
	v_mul_f32_e32 v143, 0x3f2c7751, v100
	v_add_f32_e32 v7, v35, v7
	v_add_f32_e32 v6, v34, v6
	v_mul_f32_e32 v35, 0x3eb8f4ab, v81
	v_add_f32_e32 v146, v146, v5
	v_mul_f32_e32 v32, 0xbf06c442, v94
	v_add_f32_e32 v7, v25, v7
	v_fmamk_f32 v25, v39, 0x3f6eb680, v144
	v_add_f32_e32 v6, v24, v6
	v_fma_f32 v24, 0xbf7ba420, v36, -v141
	v_fmamk_f32 v34, v41, 0xbf59a7d5, v142
	v_add_f32_e32 v7, v27, v7
	v_fma_f32 v27, 0x3f6eb680, v38, -v35
	v_add_f32_e32 v25, v25, v146
	v_add_f32_e32 v6, v26, v6
	;; [unrolled: 1-line block ×4, first 2 shown]
	v_mul_f32_e32 v33, 0xbf4c4adb, v102
	v_fmamk_f32 v26, v43, 0x3f3d2fb0, v143
	v_add_f32_e32 v25, v34, v25
	v_add_f32_e32 v6, v28, v6
	;; [unrolled: 1-line block ×4, first 2 shown]
	v_fma_f32 v27, 0xbf59a7d5, v40, -v32
	v_mul_f32_e32 v31, 0x3f2c7751, v99
	v_add_f32_e32 v6, v30, v6
	v_fmamk_f32 v30, v46, 0xbf1a4643, v33
	v_add_f32_e32 v25, v26, v25
	v_add_f32_e32 v24, v27, v24
	v_fma_f32 v26, 0x3f3d2fb0, v42, -v31
	v_mul_f32_e32 v165, 0x3f65296c, v104
	v_add_f32_e32 v7, v21, v7
	v_mul_f32_e32 v164, 0xbf06c442, v68
	v_add_f32_e32 v6, v20, v6
	v_add_f32_e32 v20, v26, v24
	;; [unrolled: 1-line block ×3, first 2 shown]
	v_fmamk_f32 v25, v47, 0x3ee437d1, v165
	v_add_f32_e32 v184, v23, v7
	v_fma_f32 v23, 0xbf59a7d5, v36, -v164
	v_mul_f32_e32 v151, 0x3f65296c, v81
	v_mul_f32_e32 v152, 0xbf7ee86f, v94
	v_add_f32_e32 v24, v25, v24
	v_mul_f32_e32 v28, 0xbf4c4adb, v101
	v_add_f32_e32 v23, v23, v4
	v_fma_f32 v25, 0x3ee437d1, v38, -v151
	v_mul_f32_e32 v153, 0x3f4c4adb, v99
	v_mul_f32_e32 v29, 0x3f65296c, v103
	v_fma_f32 v21, 0xbf1a4643, v44, -v28
	v_mul_f32_e32 v155, 0xbf763a35, v109
	v_add_f32_e32 v23, v25, v23
	v_fma_f32 v25, 0x3dbcf732, v40, -v152
	v_mul_f32_e32 v154, 0xbeb8f4ab, v101
	v_add_f32_e32 v20, v21, v20
	;; [unrolled: 3-line block ×3, first 2 shown]
	v_fma_f32 v25, 0xbf1a4643, v42, -v153
	v_fmamk_f32 v26, v49, 0xbe8c1d8e, v155
	v_mul_f32_e32 v156, 0xbe3c28d5, v103
	v_add_f32_e32 v7, v21, v20
	v_fma_f32 v20, 0xbe8c1d8e, v48, -v27
	v_add_f32_e32 v23, v25, v23
	v_fma_f32 v25, 0x3f6eb680, v44, -v154
	v_add_f32_e32 v183, v22, v6
	v_add_f32_e32 v6, v26, v24
	v_mul_f32_e32 v160, 0x3f7ee86f, v123
	v_mul_f32_e32 v166, 0xbf06c442, v84
	;; [unrolled: 1-line block ×3, first 2 shown]
	v_add_f32_e32 v23, v25, v23
	v_fma_f32 v25, 0xbf7ba420, v45, -v156
	v_mul_f32_e32 v157, 0x3f2c7751, v105
	v_add_f32_e32 v20, v20, v7
	v_fmamk_f32 v7, v51, 0x3dbcf732, v160
	v_fmamk_f32 v21, v37, 0xbf59a7d5, v166
	v_mul_f32_e32 v169, 0x3f65296c, v86
	v_fma_f32 v22, 0x3dbcf732, v50, -v26
	v_add_f32_e32 v23, v25, v23
	v_fma_f32 v25, 0x3f3d2fb0, v48, -v157
	v_mul_f32_e32 v167, 0xbf4c4adb, v68
	v_add_f32_e32 v21, v21, v5
	v_fmamk_f32 v24, v39, 0x3ee437d1, v169
	v_mul_f32_e32 v170, 0xbf7ee86f, v95
	v_add_f32_e32 v7, v7, v6
	v_add_f32_e32 v6, v22, v20
	;; [unrolled: 1-line block ×3, first 2 shown]
	v_fma_f32 v25, 0xbf1a4643, v36, -v167
	v_mul_f32_e32 v34, 0x3f763a35, v81
	v_add_f32_e32 v21, v24, v21
	v_fmamk_f32 v24, v41, 0x3dbcf732, v170
	v_mul_f32_e32 v168, 0x3f4c4adb, v100
	v_add_f32_e32 v25, v25, v4
	v_fma_f32 v147, 0xbe8c1d8e, v38, -v34
	v_mul_f32_e32 v146, 0xbeb8f4ab, v94
	v_add_f32_e32 v21, v24, v21
	v_fmamk_f32 v24, v43, 0xbf1a4643, v168
	v_mul_f32_e32 v162, 0xbeb8f4ab, v102
	v_add_f32_e32 v25, v147, v25
	;; [unrolled: 6-line block ×4, first 2 shown]
	v_fma_f32 v150, 0x3dbcf732, v44, -v148
	v_mul_f32_e32 v149, 0xbf2c7751, v103
	v_add_f32_e32 v21, v24, v21
	v_fmamk_f32 v24, v49, 0x3f3d2fb0, v159
	v_mul_f32_e32 v163, 0xbf763a35, v123
	v_mul_f32_e32 v171, 0xbf4c4adb, v84
	v_mul_f32_e32 v158, 0xbf763a35, v114
	v_add_f32_e32 v25, v150, v25
	v_fma_f32 v172, 0x3f3d2fb0, v45, -v149
	v_mul_f32_e32 v150, 0xbe3c28d5, v105
	v_add_f32_e32 v20, v24, v21
	v_fmamk_f32 v21, v51, 0xbe8c1d8e, v163
	v_fmamk_f32 v23, v37, 0xbf1a4643, v171
	v_mul_f32_e32 v178, 0x3f763a35, v86
	v_fma_f32 v24, 0xbe8c1d8e, v50, -v158
	v_add_f32_e32 v25, v172, v25
	v_fma_f32 v173, 0xbf7ba420, v48, -v150
	v_add_f32_e32 v23, v23, v5
	v_fmamk_f32 v30, v39, 0xbe8c1d8e, v178
	v_mul_f32_e32 v179, 0xbeb8f4ab, v95
	v_add_f32_e32 v21, v21, v20
	v_add_f32_e32 v20, v24, v22
	v_mul_f32_e32 v84, 0xbf763a35, v84
	v_add_f32_e32 v24, v173, v25
	v_mul_f32_e32 v173, 0xbf763a35, v68
	v_add_f32_e32 v23, v30, v23
	v_fmamk_f32 v30, v41, 0x3f6eb680, v179
	v_mul_f32_e32 v180, 0xbf06c442, v100
	v_fmamk_f32 v25, v37, 0xbe8c1d8e, v84
	v_mul_f32_e32 v174, 0x3f06c442, v86
	v_fma_f32 v68, 0xbe8c1d8e, v36, -v173
	v_mul_f32_e32 v81, 0x3f06c442, v81
	v_add_f32_e32 v23, v30, v23
	v_fmamk_f32 v30, v43, 0xbf59a7d5, v180
	v_mul_f32_e32 v181, 0x3f7ee86f, v102
	v_add_f32_e32 v25, v25, v5
	v_fmamk_f32 v176, v39, 0xbf59a7d5, v174
	v_mul_f32_e32 v175, 0x3f2c7751, v95
	v_add_f32_e32 v68, v68, v4
	v_fma_f32 v95, 0xbf59a7d5, v38, -v81
	v_mul_f32_e32 v86, 0x3f2c7751, v94
	v_add_f32_e32 v23, v30, v23
	v_fmamk_f32 v30, v46, 0x3dbcf732, v181
	v_mul_f32_e32 v182, 0xbf2c7751, v104
	v_add_f32_e32 v25, v176, v25
	v_fmamk_f32 v186, v41, 0x3f3d2fb0, v175
	v_mul_f32_e32 v176, 0xbf65296c, v100
	v_add_f32_e32 v68, v95, v68
	;; [unrolled: 9-line block ×3, first 2 shown]
	v_fma_f32 v100, 0x3ee437d1, v42, -v94
	v_mul_f32_e32 v95, 0xbe3c28d5, v101
	v_add_f32_e32 v23, v30, v23
	v_fmamk_f32 v30, v49, 0xbf7ba420, v177
	v_add_f32_e32 v25, v99, v25
	v_fmamk_f32 v186, v46, 0xbf7ba420, v102
	v_add_f32_e32 v68, v100, v68
	v_fma_f32 v100, 0xbf7ba420, v44, -v95
	v_mul_f32_e32 v99, 0x3f7ee86f, v103
	v_add_f32_e32 v22, v30, v23
	v_mul_f32_e32 v172, 0x3f65296c, v123
	v_mul_f32_e32 v30, 0x3f65296c, v114
	;; [unrolled: 1-line block ×3, first 2 shown]
	v_add_f32_e32 v25, v186, v25
	v_mul_f32_e32 v103, 0xbeb8f4ab, v109
	v_add_f32_e32 v109, v100, v68
	v_fma_f32 v186, 0x3dbcf732, v45, -v99
	v_mul_f32_e32 v68, 0xbeb8f4ab, v105
	v_fmamk_f32 v23, v51, 0x3ee437d1, v172
	v_fma_f32 v185, 0x3ee437d1, v50, -v30
	v_fmamk_f32 v104, v47, 0x3dbcf732, v101
	v_add_f32_e32 v105, v186, v109
	v_fma_f32 v109, 0x3f6eb680, v48, -v68
	v_add_f32_e32 v23, v23, v22
	v_add_f32_e32 v22, v185, v24
	;; [unrolled: 1-line block ×3, first 2 shown]
	v_fmamk_f32 v104, v49, 0x3f6eb680, v103
	v_add_f32_e32 v24, v109, v105
	v_mul_f32_e32 v105, 0x3dbcf732, v37
	v_mul_f32_e32 v109, 0x3dbcf732, v36
	;; [unrolled: 1-line block ×3, first 2 shown]
	v_add_f32_e32 v25, v104, v25
	v_mul_f32_e32 v104, 0xbf4c4adb, v114
	v_mul_f32_e32 v114, 0xbf7ba420, v39
	v_add_f32_e32 v105, v131, v105
	v_mul_f32_e32 v131, 0xbf7ba420, v38
	v_sub_f32_e32 v109, v109, v126
	v_mul_f32_e32 v126, 0xbe8c1d8e, v41
	v_add_f32_e32 v114, v134, v114
	v_add_f32_e32 v105, v105, v5
	v_sub_f32_e32 v128, v131, v128
	v_add_f32_e32 v109, v109, v4
	v_mul_f32_e32 v131, 0xbe8c1d8e, v40
	v_fmamk_f32 v123, v51, 0xbf1a4643, v100
	v_add_f32_e32 v105, v114, v105
	v_add_f32_e32 v114, v136, v126
	v_mul_f32_e32 v126, 0x3f6eb680, v43
	v_add_f32_e32 v109, v128, v109
	v_sub_f32_e32 v128, v131, v129
	v_mul_f32_e32 v129, 0x3f6eb680, v42
	v_add_f32_e32 v105, v114, v105
	v_add_f32_e32 v114, v137, v126
	v_mul_f32_e32 v126, 0x3ee437d1, v46
	v_add_f32_e32 v109, v128, v109
	v_sub_f32_e32 v128, v129, v130
	v_mul_f32_e32 v129, 0x3ee437d1, v44
	;; [unrolled: 6-line block ×3, first 2 shown]
	v_add_f32_e32 v105, v114, v105
	v_add_f32_e32 v114, v139, v126
	;; [unrolled: 1-line block ×4, first 2 shown]
	v_sub_f32_e32 v128, v129, v135
	v_fma_f32 v123, 0xbf1a4643, v50, -v104
	v_add_f32_e32 v105, v114, v105
	v_mul_f32_e32 v114, 0xbf1a4643, v48
	v_mul_f32_e32 v126, 0xbf1a4643, v49
	v_add_f32_e32 v109, v128, v109
	v_add_f32_e32 v24, v123, v24
	v_mul_f32_e32 v128, 0x3f3d2fb0, v51
	v_sub_f32_e32 v114, v114, v127
	v_mul_f32_e32 v127, 0xbf1a4643, v39
	v_add_f32_e32 v123, v140, v126
	v_mul_f32_e32 v126, 0x3ee437d1, v37
	v_add_f32_e32 v16, v16, v183
	v_add_f32_e32 v109, v114, v109
	;; [unrolled: 1-line block ×3, first 2 shown]
	v_mul_f32_e32 v120, 0x3ee437d1, v36
	v_add_f32_e32 v105, v123, v105
	v_add_f32_e32 v123, v132, v128
	v_mul_f32_e32 v128, 0xbf1a4643, v38
	v_add_f32_e32 v119, v119, v126
	v_sub_f32_e32 v106, v120, v106
	v_mul_f32_e32 v120, 0xbf7ba420, v40
	v_mul_f32_e32 v126, 0xbf7ba420, v41
	v_sub_f32_e32 v108, v128, v108
	v_add_f32_e32 v119, v119, v5
	v_add_f32_e32 v106, v106, v4
	v_mul_f32_e32 v127, 0x3f3d2fb0, v50
	v_add_f32_e32 v115, v115, v126
	v_add_f32_e32 v16, v18, v16
	;; [unrolled: 1-line block ×4, first 2 shown]
	v_sub_f32_e32 v108, v120, v110
	v_mul_f32_e32 v110, 0xbe8c1d8e, v42
	v_mul_f32_e32 v119, 0xbe8c1d8e, v43
	v_add_f32_e32 v114, v115, v114
	v_add_f32_e32 v12, v12, v16
	;; [unrolled: 1-line block ×3, first 2 shown]
	v_sub_f32_e32 v108, v110, v111
	v_mul_f32_e32 v111, 0x3f3d2fb0, v44
	v_add_f32_e32 v115, v116, v119
	v_mul_f32_e32 v116, 0x3f3d2fb0, v46
	v_sub_f32_e32 v110, v127, v125
	v_add_f32_e32 v108, v108, v106
	v_sub_f32_e32 v111, v111, v112
	v_mul_f32_e32 v112, 0x3f6eb680, v45
	v_add_f32_e32 v114, v115, v114
	v_add_f32_e32 v115, v117, v116
	v_mul_f32_e32 v116, 0x3f6eb680, v47
	v_add_f32_e32 v106, v123, v105
	v_add_f32_e32 v108, v111, v108
	v_sub_f32_e32 v111, v112, v113
	v_add_f32_e32 v105, v110, v109
	v_mul_f32_e32 v109, 0x3f3d2fb0, v37
	v_add_f32_e32 v114, v115, v114
	v_add_f32_e32 v115, v118, v116
	v_mul_f32_e32 v116, 0x3dbcf732, v49
	v_mul_f32_e32 v112, 0x3dbcf732, v48
	v_add_f32_e32 v108, v111, v108
	v_mul_f32_e32 v111, 0x3dbcf732, v39
	v_add_f32_e32 v91, v91, v109
	v_add_f32_e32 v114, v115, v114
	v_add_f32_e32 v115, v122, v116
	v_mul_f32_e32 v109, 0xbf59a7d5, v51
	v_sub_f32_e32 v107, v112, v107
	v_mul_f32_e32 v112, 0xbf59a7d5, v50
	v_add_f32_e32 v93, v93, v111
	v_add_f32_e32 v91, v91, v5
	v_mul_f32_e32 v111, 0xbf1a4643, v41
	v_add_f32_e32 v110, v115, v114
	v_add_f32_e32 v109, v124, v109
	;; [unrolled: 1-line block ×3, first 2 shown]
	v_sub_f32_e32 v108, v112, v121
	v_add_f32_e32 v93, v93, v91
	v_mul_f32_e32 v112, 0x3f3d2fb0, v36
	v_add_f32_e32 v89, v89, v111
	v_mul_f32_e32 v111, 0xbf7ba420, v43
	;; [unrolled: 2-line block ×3, first 2 shown]
	v_sub_f32_e32 v75, v112, v75
	v_add_f32_e32 v89, v89, v93
	v_add_f32_e32 v93, v90, v111
	v_mul_f32_e32 v110, 0xbf59a7d5, v46
	v_sub_f32_e32 v82, v109, v82
	v_add_f32_e32 v75, v75, v4
	v_add_f32_e32 v90, v108, v107
	v_mul_f32_e32 v107, 0xbf1a4643, v40
	v_add_f32_e32 v89, v93, v89
	v_add_f32_e32 v92, v92, v110
	;; [unrolled: 1-line block ×3, first 2 shown]
	v_mul_f32_e32 v93, 0xbf7ba420, v42
	v_sub_f32_e32 v83, v107, v83
	v_mul_f32_e32 v82, 0xbe8c1d8e, v47
	v_add_f32_e32 v89, v92, v89
	v_mul_f32_e32 v92, 0x3f6eb680, v37
	v_sub_f32_e32 v74, v93, v74
	v_add_f32_e32 v75, v83, v75
	v_mul_f32_e32 v83, 0x3f3d2fb0, v39
	v_add_f32_e32 v82, v87, v82
	v_add_f32_e32 v55, v55, v92
	v_mul_f32_e32 v87, 0xbf59a7d5, v44
	v_add_f32_e32 v74, v74, v75
	;; [unrolled: 3-line block ×3, first 2 shown]
	v_sub_f32_e32 v71, v87, v71
	v_mul_f32_e32 v87, 0xbe8c1d8e, v45
	v_mul_f32_e32 v83, 0x3ee437d1, v49
	v_add_f32_e32 v82, v82, v89
	v_add_f32_e32 v55, v56, v55
	;; [unrolled: 1-line block ×3, first 2 shown]
	v_mul_f32_e32 v60, 0x3dbcf732, v43
	v_add_f32_e32 v71, v71, v74
	v_sub_f32_e32 v70, v87, v70
	v_mul_f32_e32 v74, 0x3ee437d1, v48
	v_add_f32_e32 v55, v56, v55
	v_add_f32_e32 v56, v59, v60
	v_mul_f32_e32 v60, 0xbe8c1d8e, v46
	v_add_f32_e32 v70, v70, v71
	v_mul_f32_e32 v71, 0xbf1a4643, v47
	v_add_f32_e32 v75, v88, v83
	v_add_f32_e32 v55, v56, v55
	;; [unrolled: 1-line block ×3, first 2 shown]
	v_sub_f32_e32 v64, v74, v69
	v_mul_f32_e32 v69, 0x3f6eb680, v36
	v_add_f32_e32 v63, v63, v71
	v_mul_f32_e32 v56, 0x3f6eb680, v51
	v_add_f32_e32 v55, v60, v55
	v_mul_f32_e32 v60, 0x3f3d2fb0, v38
	v_sub_f32_e32 v53, v69, v53
	v_mul_f32_e32 v69, 0xbf59a7d5, v49
	v_add_f32_e32 v59, v75, v82
	v_add_f32_e32 v55, v63, v55
	v_sub_f32_e32 v52, v60, v52
	v_add_f32_e32 v53, v53, v4
	v_add_f32_e32 v63, v66, v69
	;; [unrolled: 1-line block ×3, first 2 shown]
	v_fma_f32 v16, 0xbf59a7d5, v41, -v142
	v_add_f32_e32 v12, v14, v12
	v_add_f32_e32 v52, v52, v53
	v_mul_f32_e32 v53, 0x3dbcf732, v42
	v_add_f32_e32 v55, v63, v55
	v_mul_f32_e32 v63, 0xbf7ba420, v51
	v_fma_f32 v14, 0x3f3d2fb0, v43, -v143
	v_fmac_f32_e32 v141, 0xbf7ba420, v36
	v_sub_f32_e32 v57, v53, v57
	v_add_f32_e32 v53, v56, v59
	v_add_f32_e32 v56, v67, v63
	;; [unrolled: 1-line block ×4, first 2 shown]
	v_fma_f32 v12, 0xbf1a4643, v46, -v33
	v_fmac_f32_e32 v35, 0x3f6eb680, v38
	v_add_f32_e32 v17, v56, v55
	v_add_f32_e32 v19, v19, v59
	v_fma_f32 v55, 0xbf7ba420, v37, -v145
	v_add_f32_e32 v8, v10, v8
	v_fma_f32 v10, 0x3ee437d1, v47, -v165
	v_fmac_f32_e32 v32, 0xbf59a7d5, v40
	v_add_f32_e32 v13, v13, v19
	v_add_f32_e32 v18, v55, v5
	v_fma_f32 v19, 0x3f6eb680, v39, -v144
	v_add_f32_e32 v0, v0, v8
	v_fma_f32 v8, 0xbf59a7d5, v37, -v166
	v_add_f32_e32 v13, v15, v13
	v_fmac_f32_e32 v31, 0x3f3d2fb0, v42
	v_add_f32_e32 v15, v19, v18
	v_fmac_f32_e32 v28, 0xbf1a4643, v44
	v_add_f32_e32 v8, v8, v5
	v_add_f32_e32 v9, v9, v13
	v_fmac_f32_e32 v164, 0xbf59a7d5, v36
	v_add_f32_e32 v13, v16, v15
	v_fmac_f32_e32 v151, 0x3ee437d1, v38
	v_fmac_f32_e32 v152, 0x3dbcf732, v40
	v_add_f32_e32 v9, v11, v9
	v_fmac_f32_e32 v29, 0x3ee437d1, v45
	v_add_f32_e32 v11, v14, v13
	v_add_f32_e32 v13, v141, v4
	v_fma_f32 v14, 0xbe8c1d8e, v39, -v178
	v_add_f32_e32 v1, v1, v9
	v_fmac_f32_e32 v153, 0xbf1a4643, v42
	v_add_f32_e32 v9, v12, v11
	v_add_f32_e32 v11, v35, v13
	v_fma_f32 v12, 0x3ee437d1, v39, -v169
	v_fma_f32 v13, 0xbf1a4643, v37, -v171
	v_fmac_f32_e32 v27, 0xbe8c1d8e, v48
	v_add_f32_e32 v9, v10, v9
	v_fma_f32 v10, 0xbe8c1d8e, v49, -v155
	v_add_f32_e32 v11, v32, v11
	v_add_f32_e32 v8, v12, v8
	v_fma_f32 v12, 0x3dbcf732, v41, -v170
	v_add_f32_e32 v13, v13, v5
	;; [unrolled: 3-line block ×3, first 2 shown]
	v_add_f32_e32 v8, v12, v8
	v_add_f32_e32 v12, v164, v4
	v_fmac_f32_e32 v154, 0x3f6eb680, v44
	v_add_f32_e32 v9, v10, v9
	v_add_f32_e32 v10, v28, v11
	v_fma_f32 v11, 0xbf1a4643, v43, -v168
	v_mul_f32_e32 v60, 0x3ee437d1, v40
	v_fmac_f32_e32 v26, 0x3dbcf732, v50
	v_fmac_f32_e32 v156, 0xbf7ba420, v45
	v_add_f32_e32 v10, v29, v10
	v_add_f32_e32 v8, v11, v8
	;; [unrolled: 1-line block ×3, first 2 shown]
	v_fma_f32 v12, 0x3f6eb680, v46, -v162
	v_fma_f32 v15, 0x3f3d2fb0, v49, -v159
	v_add_f32_e32 v10, v27, v10
	v_sub_f32_e32 v54, v60, v54
	v_add_f32_e32 v11, v152, v11
	v_add_f32_e32 v8, v12, v8
	;; [unrolled: 1-line block ×3, first 2 shown]
	v_fma_f32 v13, 0x3f6eb680, v41, -v179
	v_fma_f32 v14, 0xbf7ba420, v47, -v161
	v_add_f32_e32 v11, v153, v11
	v_fmac_f32_e32 v167, 0xbf1a4643, v36
	v_fmac_f32_e32 v173, 0xbe8c1d8e, v36
	v_add_f32_e32 v12, v13, v12
	v_fma_f32 v13, 0xbf59a7d5, v43, -v180
	v_add_f32_e32 v14, v14, v8
	v_add_f32_e32 v11, v154, v11
	;; [unrolled: 1-line block ×3, first 2 shown]
	v_mul_f32_e32 v60, 0xbe8c1d8e, v44
	v_add_f32_e32 v12, v13, v12
	v_fma_f32 v13, 0x3dbcf732, v46, -v181
	v_add_f32_e32 v10, v156, v11
	v_add_f32_e32 v11, v15, v14
	v_fma_f32 v14, 0xbe8c1d8e, v51, -v163
	v_add_f32_e32 v54, v54, v52
	v_add_f32_e32 v12, v13, v12
	v_fma_f32 v13, 0x3f3d2fb0, v47, -v182
	v_fmac_f32_e32 v34, 0xbe8c1d8e, v38
	v_add_f32_e32 v11, v14, v11
	v_add_f32_e32 v14, v167, v4
	v_add_f32_e32 v4, v173, v4
	v_add_f32_e32 v12, v13, v12
	v_fma_f32 v13, 0xbf7ba420, v49, -v177
	v_fmac_f32_e32 v81, 0xbf59a7d5, v38
	v_mul_f32_e32 v69, 0xbf1a4643, v45
	v_add_f32_e32 v54, v57, v54
	v_sub_f32_e32 v57, v60, v58
	v_add_f32_e32 v12, v13, v12
	v_fma_f32 v13, 0xbe8c1d8e, v37, -v84
	v_add_f32_e32 v14, v34, v14
	v_fmac_f32_e32 v146, 0x3f6eb680, v40
	v_add_f32_e32 v4, v81, v4
	v_fmac_f32_e32 v86, 0x3f3d2fb0, v40
	v_add_f32_e32 v5, v13, v5
	v_fma_f32 v13, 0xbf59a7d5, v39, -v174
	v_add_f32_e32 v64, v64, v70
	v_mul_f32_e32 v70, 0xbf59a7d5, v48
	v_add_f32_e32 v54, v57, v54
	v_sub_f32_e32 v56, v69, v61
	v_add_f32_e32 v5, v13, v5
	v_fma_f32 v13, 0x3f3d2fb0, v41, -v175
	v_add_f32_e32 v14, v146, v14
	v_fmac_f32_e32 v147, 0xbf59a7d5, v42
	v_add_f32_e32 v4, v86, v4
	v_fmac_f32_e32 v94, 0x3ee437d1, v42
	v_add_f32_e32 v5, v13, v5
	v_fma_f32 v13, 0x3ee437d1, v43, -v176
	v_mul_f32_e32 v71, 0xbf7ba420, v50
	v_add_f32_e32 v54, v56, v54
	v_sub_f32_e32 v55, v70, v62
	v_add_f32_e32 v14, v147, v14
	v_fmac_f32_e32 v148, 0x3dbcf732, v44
	v_add_f32_e32 v5, v13, v5
	v_fma_f32 v13, 0xbf7ba420, v46, -v102
	v_add_f32_e32 v4, v94, v4
	v_fmac_f32_e32 v95, 0xbf7ba420, v44
	v_add_f32_e32 v18, v55, v54
	v_sub_f32_e32 v19, v71, v65
	v_add_f32_e32 v14, v148, v14
	v_fmac_f32_e32 v149, 0x3f3d2fb0, v45
	v_add_f32_e32 v5, v13, v5
	v_fma_f32 v13, 0x3dbcf732, v47, -v101
	v_add_f32_e32 v4, v95, v4
	v_fmac_f32_e32 v99, 0x3dbcf732, v45
	v_mul_f32_e32 v66, 0x3f6eb680, v50
	v_add_f32_e32 v16, v19, v18
	v_fmac_f32_e32 v157, 0x3f3d2fb0, v48
	v_add_f32_e32 v14, v149, v14
	v_fmac_f32_e32 v150, 0xbf7ba420, v48
	v_add_f32_e32 v5, v13, v5
	v_fma_f32 v13, 0x3f6eb680, v49, -v103
	v_add_f32_e32 v4, v99, v4
	v_fmac_f32_e32 v68, 0x3f6eb680, v48
	v_mul_lo_u16 v18, v98, 17
	v_mov_b32_e32 v19, 3
	v_sub_f32_e32 v66, v66, v85
	v_add_f32_e32 v10, v157, v10
	v_fmac_f32_e32 v158, 0xbe8c1d8e, v50
	v_fma_f32 v15, 0x3ee437d1, v51, -v172
	v_add_f32_e32 v14, v150, v14
	v_fmac_f32_e32 v30, 0x3ee437d1, v50
	v_add_f32_e32 v13, v13, v5
	v_fma_f32 v26, 0xbf1a4643, v51, -v100
	v_add_f32_e32 v27, v68, v4
	v_fmac_f32_e32 v104, 0xbf1a4643, v50
	v_lshlrev_b32_sdwa v18, v19, v18 dst_sel:DWORD dst_unused:UNUSED_PAD src0_sel:DWORD src1_sel:WORD_0
	v_add_f32_e32 v52, v66, v64
	v_add_f32_e32 v10, v158, v10
	v_add_f32_e32 v5, v15, v12
	v_add_f32_e32 v4, v30, v14
	v_add_f32_e32 v13, v26, v13
	v_add_f32_e32 v12, v104, v27
	ds_write2_b64 v18, v[0:1], v[16:17] offset1:1
	ds_write2_b64 v18, v[52:53], v[90:91] offset0:2 offset1:3
	ds_write2_b64 v18, v[105:106], v[24:25] offset0:4 offset1:5
	;; [unrolled: 1-line block ×7, first 2 shown]
	ds_write_b64 v18, v[77:78] offset:128
.LBB0_7:
	s_or_b32 exec_lo, exec_lo, s4
	v_and_b32_e32 v0, 0xff, v98
	s_load_dwordx4 s[4:7], s[0:1], 0x0
	s_waitcnt lgkmcnt(0)
	s_barrier
	buffer_gl0_inv
	v_mul_lo_u16 v0, 0xf1, v0
	v_add_nc_u32_e32 v81, 0x800, v97
	v_cmp_gt_u16_e64 s0, 17, v98
	v_lshrrev_b16 v33, 12, v0
	v_mul_lo_u16 v0, v33, 17
	v_sub_nc_u16 v0, v98, v0
	v_and_b32_e32 v32, 0xff, v0
	v_mul_u32_u24_e32 v0, 12, v32
	v_lshlrev_b32_e32 v0, 3, v0
	s_clause 0x5
	global_load_dwordx4 v[24:27], v0, s[2:3]
	global_load_dwordx4 v[20:23], v0, s[2:3] offset:16
	global_load_dwordx4 v[12:15], v0, s[2:3] offset:32
	;; [unrolled: 1-line block ×5, first 2 shown]
	ds_read2_b64 v[28:31], v97 offset1:51
	ds_read2_b64 v[46:49], v97 offset0:102 offset1:153
	ds_read2_b64 v[50:53], v97 offset0:204 offset1:255
	ds_read2_b64 v[54:57], v81 offset0:50 offset1:101
	v_add_nc_u32_e32 v0, 0xc00, v97
	ds_read2_b64 v[58:61], v81 offset0:152 offset1:203
	ds_read2_b64 v[62:65], v0 offset0:126 offset1:177
	ds_read_b64 v[66:67], v97 offset:4896
	s_waitcnt vmcnt(0) lgkmcnt(0)
	s_barrier
	buffer_gl0_inv
	v_mul_f32_e32 v37, v31, v25
	v_mul_f32_e32 v68, v30, v25
	;; [unrolled: 1-line block ×6, first 2 shown]
	v_fma_f32 v86, v30, v24, -v37
	v_fmac_f32_e32 v68, v31, v24
	v_mul_f32_e32 v40, v49, v21
	v_mul_f32_e32 v45, v50, v23
	;; [unrolled: 1-line block ×3, first 2 shown]
	v_fma_f32 v87, v46, v26, -v38
	v_fmac_f32_e32 v69, v47, v26
	v_fmac_f32_e32 v70, v49, v20
	v_fma_f32 v47, v50, v22, -v42
	v_add_f32_e32 v49, v28, v86
	v_add_f32_e32 v50, v29, v68
	v_mul_f32_e32 v36, v58, v7
	v_mul_f32_e32 v0, v60, v17
	v_fma_f32 v48, v48, v20, -v40
	v_fma_f32 v37, v62, v18, -v83
	v_add_f32_e32 v49, v49, v87
	v_add_f32_e32 v50, v50, v69
	v_mul_f32_e32 v82, v61, v17
	v_mul_f32_e32 v43, v52, v13
	;; [unrolled: 1-line block ×6, first 2 shown]
	v_fmac_f32_e32 v45, v51, v22
	v_fmac_f32_e32 v36, v59, v6
	;; [unrolled: 1-line block ×3, first 2 shown]
	v_add_f32_e32 v59, v48, v37
	v_sub_f32_e32 v61, v48, v37
	v_add_f32_e32 v48, v49, v48
	v_add_f32_e32 v49, v50, v70
	v_mul_f32_e32 v44, v53, v13
	v_mul_f32_e32 v1, v62, v19
	;; [unrolled: 1-line block ×3, first 2 shown]
	v_fma_f32 v38, v60, v16, -v82
	v_mul_f32_e32 v71, v55, v15
	v_mul_f32_e32 v41, v54, v15
	;; [unrolled: 1-line block ×4, first 2 shown]
	v_fmac_f32_e32 v43, v53, v12
	v_fma_f32 v31, v64, v8, -v84
	v_fma_f32 v30, v66, v10, -v85
	v_fmac_f32_e32 v35, v67, v10
	v_add_f32_e32 v64, v45, v0
	v_sub_f32_e32 v66, v45, v0
	v_add_f32_e32 v45, v49, v45
	v_fma_f32 v46, v52, v12, -v44
	v_fma_f32 v40, v58, v6, -v75
	v_fmac_f32_e32 v1, v63, v18
	v_fmac_f32_e32 v34, v65, v8
	v_add_f32_e32 v63, v47, v38
	v_sub_f32_e32 v65, v47, v38
	v_add_f32_e32 v47, v48, v47
	v_fma_f32 v44, v54, v14, -v71
	v_fmac_f32_e32 v41, v55, v14
	v_fma_f32 v42, v56, v4, -v74
	v_fmac_f32_e32 v39, v57, v4
	v_add_f32_e32 v52, v68, v35
	v_sub_f32_e32 v53, v86, v30
	v_sub_f32_e32 v54, v68, v35
	v_add_f32_e32 v68, v43, v36
	v_sub_f32_e32 v74, v43, v36
	v_add_f32_e32 v43, v45, v43
	v_add_f32_e32 v67, v46, v40
	v_sub_f32_e32 v71, v46, v40
	v_add_f32_e32 v46, v47, v46
	v_add_f32_e32 v51, v86, v30
	;; [unrolled: 1-line block ×4, first 2 shown]
	v_sub_f32_e32 v57, v87, v31
	v_sub_f32_e32 v58, v69, v34
	;; [unrolled: 1-line block ×3, first 2 shown]
	v_add_f32_e32 v82, v41, v39
	v_sub_f32_e32 v84, v41, v39
	v_mul_f32_e32 v69, 0xbeedf032, v54
	v_mul_f32_e32 v85, 0xbeedf032, v53
	;; [unrolled: 1-line block ×12, first 2 shown]
	v_add_f32_e32 v41, v43, v41
	v_add_f32_e32 v75, v44, v42
	v_sub_f32_e32 v83, v44, v42
	v_add_f32_e32 v44, v46, v44
	v_add_f32_e32 v60, v70, v1
	v_mul_f32_e32 v94, 0xbf52af12, v58
	v_mul_f32_e32 v95, 0xbf52af12, v57
	;; [unrolled: 1-line block ×48, first 2 shown]
	v_fma_f32 v50, 0x3f62ad3f, v51, -v69
	v_fmamk_f32 v70, v52, 0x3f62ad3f, v85
	v_fmac_f32_e32 v69, 0x3f62ad3f, v51
	v_fma_f32 v85, 0x3f62ad3f, v52, -v85
	v_fma_f32 v138, 0x3f116cb1, v51, -v86
	v_fmamk_f32 v139, v52, 0x3f116cb1, v87
	v_fmac_f32_e32 v86, 0x3f116cb1, v51
	v_fma_f32 v87, 0x3f116cb1, v52, -v87
	;; [unrolled: 4-line block ×6, first 2 shown]
	v_add_f32_e32 v39, v41, v39
	v_add_f32_e32 v42, v44, v42
	v_fma_f32 v52, 0x3f116cb1, v55, -v94
	v_fmamk_f32 v53, v56, 0x3f116cb1, v95
	v_fmac_f32_e32 v94, 0x3f116cb1, v55
	v_fma_f32 v95, 0x3f116cb1, v56, -v95
	v_fma_f32 v148, 0xbeb58ec6, v55, -v96
	v_fmamk_f32 v149, v56, 0xbeb58ec6, v99
	v_fmac_f32_e32 v96, 0xbeb58ec6, v55
	v_fma_f32 v99, 0xbeb58ec6, v56, -v99
	;; [unrolled: 4-line block ×18, first 2 shown]
	v_fma_f32 v64, 0xbf3f9e67, v67, -v126
	v_fmac_f32_e32 v126, 0xbf3f9e67, v67
	v_fma_f32 v178, 0x3df6dbef, v67, -v128
	v_fmac_f32_e32 v128, 0x3df6dbef, v67
	;; [unrolled: 2-line block ×5, first 2 shown]
	v_fma_f32 v186, 0xbeb58ec6, v67, -v74
	v_fmamk_f32 v187, v68, 0xbeb58ec6, v71
	v_fmac_f32_e32 v74, 0xbeb58ec6, v67
	v_fma_f32 v67, 0xbeb58ec6, v68, -v71
	v_add_f32_e32 v48, v28, v50
	v_add_f32_e32 v49, v29, v70
	;; [unrolled: 1-line block ×55, first 2 shown]
	v_mul_f32_e32 v136, 0xbe750f2a, v84
	v_mul_f32_e32 v137, 0xbe750f2a, v83
	v_fmamk_f32 v65, v68, 0xbf3f9e67, v127
	v_add_f32_e32 v69, v151, v138
	v_add_f32_e32 v47, v107, v49
	;; [unrolled: 1-line block ×20, first 2 shown]
	v_mul_f32_e32 v36, 0x3eedf032, v84
	v_fma_f32 v127, 0xbf3f9e67, v68, -v127
	v_fmamk_f32 v179, v68, 0x3df6dbef, v129
	v_fma_f32 v129, 0x3df6dbef, v68, -v129
	v_fmamk_f32 v181, v68, 0x3f116cb1, v131
	;; [unrolled: 2-line block ×4, first 2 shown]
	v_fma_f32 v135, 0x3f62ad3f, v68, -v135
	v_fma_f32 v68, 0xbf788fa5, v75, -v136
	v_add_f32_e32 v53, v161, v69
	v_add_f32_e32 v55, v111, v71
	;; [unrolled: 1-line block ×18, first 2 shown]
	v_fmamk_f32 v0, v82, 0xbf788fa5, v137
	v_mul_f32_e32 v35, 0x3eedf032, v83
	v_mul_f32_e32 v40, 0xbf29c268, v84
	v_add_f32_e32 v86, v153, v140
	v_add_f32_e32 v42, v126, v44
	;; [unrolled: 1-line block ×3, first 2 shown]
	v_fma_f32 v34, 0x3f62ad3f, v75, -v36
	v_add_f32_e32 v51, v171, v53
	v_add_f32_e32 v53, v121, v55
	;; [unrolled: 1-line block ×17, first 2 shown]
	v_fmamk_f32 v37, v82, 0x3f62ad3f, v35
	v_fma_f32 v38, 0x3f62ad3f, v82, -v35
	v_mul_f32_e32 v39, 0xbf29c268, v83
	v_fma_f32 v41, 0xbf3f9e67, v75, -v40
	v_add_f32_e32 v90, v155, v142
	v_fmac_f32_e32 v136, 0xbf788fa5, v75
	v_add_f32_e32 v94, v157, v144
	v_add_f32_e32 v57, v163, v86
	;; [unrolled: 1-line block ×3, first 2 shown]
	v_fma_f32 v1, 0xbf788fa5, v82, -v137
	v_add_f32_e32 v34, v34, v44
	v_mul_f32_e32 v44, 0x3f52af12, v84
	v_add_f32_e32 v49, v181, v51
	v_add_f32_e32 v51, v131, v53
	;; [unrolled: 1-line block ×5, first 2 shown]
	v_fma_f32 v41, 0xbf3f9e67, v82, -v39
	v_add_f32_e32 v71, v165, v90
	v_add_f32_e32 v0, v136, v42
	v_fmamk_f32 v42, v82, 0xbf3f9e67, v39
	v_add_f32_e32 v86, v115, v92
	v_add_f32_e32 v88, v167, v94
	;; [unrolled: 1-line block ×5, first 2 shown]
	v_fmac_f32_e32 v40, 0xbf3f9e67, v75
	v_fma_f32 v43, 0x3f116cb1, v75, -v44
	v_mul_f32_e32 v45, 0x3f52af12, v83
	v_add_f32_e32 v41, v41, v51
	v_mov_b32_e32 v51, 0xdd
	v_add_f32_e32 v59, v175, v71
	v_fmac_f32_e32 v36, 0x3f62ad3f, v75
	v_add_f32_e32 v39, v42, v49
	v_mul_f32_e32 v48, 0xbf6f5d39, v84
	v_mul_f32_e32 v49, 0xbf6f5d39, v83
	v_add_f32_e32 v61, v125, v86
	v_add_f32_e32 v69, v177, v88
	;; [unrolled: 1-line block ×6, first 2 shown]
	v_fmamk_f32 v43, v82, 0x3f116cb1, v45
	v_fmac_f32_e32 v44, 0x3f116cb1, v75
	v_fma_f32 v45, 0x3f116cb1, v82, -v45
	v_mul_f32_e32 v52, 0x3f7e222b, v84
	v_mul_f32_e32 v50, 0x3f7e222b, v83
	v_mul_u32_u24_sdwa v33, v33, v51 dst_sel:DWORD dst_unused:UNUSED_PAD src0_sel:WORD_0 src1_sel:DWORD
	v_add_f32_e32 v57, v185, v59
	v_add_f32_e32 v36, v36, v46
	v_fma_f32 v46, 0xbeb58ec6, v75, -v48
	v_fmamk_f32 v47, v82, 0xbeb58ec6, v49
	v_add_f32_e32 v59, v135, v61
	v_add_f32_e32 v61, v187, v69
	;; [unrolled: 1-line block ×5, first 2 shown]
	v_fma_f32 v53, 0x3df6dbef, v75, -v52
	v_fmamk_f32 v54, v82, 0x3df6dbef, v50
	v_fmac_f32_e32 v52, 0x3df6dbef, v75
	v_fma_f32 v55, 0x3df6dbef, v82, -v50
	v_fmac_f32_e32 v48, 0xbeb58ec6, v75
	v_fma_f32 v49, 0xbeb58ec6, v82, -v49
	v_add_lshl_u32 v99, v33, v32, 3
	v_add_nc_u32_e32 v83, 0x400, v97
	v_add_f32_e32 v46, v46, v56
	v_add_f32_e32 v47, v47, v57
	v_add_f32_e32 v50, v53, v60
	v_add_f32_e32 v51, v54, v61
	v_add_f32_e32 v52, v52, v62
	v_add_f32_e32 v53, v55, v63
	v_add_f32_e32 v48, v48, v58
	v_add_f32_e32 v49, v49, v59
	v_add_nc_u32_e32 v82, 0x1000, v97
	ds_write2_b64 v99, v[28:29], v[30:31] offset1:17
	ds_write2_b64 v99, v[34:35], v[38:39] offset0:34 offset1:51
	ds_write2_b64 v99, v[42:43], v[46:47] offset0:68 offset1:85
	;; [unrolled: 1-line block ×5, first 2 shown]
	ds_write_b64 v99, v[0:1] offset:1632
	s_waitcnt lgkmcnt(0)
	s_barrier
	buffer_gl0_inv
	ds_read2_b64 v[56:59], v97 offset1:51
	ds_read2_b64 v[68:71], v83 offset0:93 offset1:144
	ds_read2_b64 v[64:67], v81 offset0:186 offset1:237
	;; [unrolled: 1-line block ×5, first 2 shown]
	s_and_saveexec_b32 s1, s0
	s_cbranch_execz .LBB0_9
; %bb.8:
	v_add_nc_u32_e32 v0, 0x600, v97
	ds_read2_b64 v[0:3], v0 offset0:12 offset1:233
	ds_read_b64 v[72:73], v97 offset:5168
.LBB0_9:
	s_or_b32 exec_lo, exec_lo, s1
	v_lshlrev_b32_e32 v28, 4, v98
	v_add_nc_u32_e32 v29, 0x330, v28
	v_add_nc_u32_e32 v30, 0x660, v28
	s_clause 0x1
	global_load_dwordx4 v[36:39], v28, s[2:3] offset:1632
	global_load_dwordx4 v[44:47], v29, s[2:3] offset:1632
	v_add_nc_u32_e32 v28, 0x990, v28
	s_clause 0x1
	global_load_dwordx4 v[40:43], v30, s[2:3] offset:1632
	global_load_dwordx4 v[32:35], v28, s[2:3] offset:1632
	v_add_co_u32 v28, s1, 0xcc, v98
	v_add_co_ci_u32_e64 v29, null, 0, 0, s1
	v_add_co_u32 v30, s1, 0xffffffef, v98
	v_add_co_ci_u32_e64 v31, null, 0, -1, s1
	v_cndmask_b32_e64 v28, v30, v28, s0
	v_cndmask_b32_e64 v29, v31, v29, s0
	v_lshlrev_b64 v[28:29], 4, v[28:29]
	v_add_co_u32 v28, s1, s2, v28
	v_add_co_ci_u32_e64 v29, s1, s3, v29, s1
	global_load_dwordx4 v[28:31], v[28:29], off offset:1632
	s_waitcnt vmcnt(4) lgkmcnt(4)
	v_mul_f32_e32 v74, v69, v37
	v_mul_f32_e32 v75, v68, v37
	s_waitcnt lgkmcnt(3)
	v_mul_f32_e32 v85, v64, v39
	v_mul_f32_e32 v84, v65, v39
	v_fma_f32 v68, v68, v36, -v74
	v_fmac_f32_e32 v75, v69, v36
	v_fmac_f32_e32 v85, v65, v38
	s_waitcnt vmcnt(3)
	v_mul_f32_e32 v65, v71, v45
	v_mul_f32_e32 v74, v67, v47
	s_waitcnt vmcnt(2) lgkmcnt(1)
	v_mul_f32_e32 v87, v60, v41
	v_fma_f32 v64, v64, v38, -v84
	v_mul_f32_e32 v69, v70, v45
	v_mul_f32_e32 v84, v66, v47
	;; [unrolled: 1-line block ×3, first 2 shown]
	s_waitcnt lgkmcnt(0)
	v_mul_f32_e32 v89, v48, v43
	s_waitcnt vmcnt(1)
	v_mul_f32_e32 v92, v51, v35
	v_fma_f32 v65, v70, v44, -v65
	v_fma_f32 v66, v66, v46, -v74
	v_fmac_f32_e32 v87, v61, v40
	v_add_f32_e32 v61, v75, v85
	v_mul_f32_e32 v88, v49, v43
	v_mul_f32_e32 v90, v63, v33
	;; [unrolled: 1-line block ×4, first 2 shown]
	v_fmac_f32_e32 v69, v71, v44
	v_fmac_f32_e32 v84, v67, v46
	;; [unrolled: 1-line block ×3, first 2 shown]
	v_fma_f32 v71, v50, v34, -v92
	v_add_f32_e32 v49, v68, v64
	v_add_f32_e32 v50, v57, v75
	v_fma_f32 v61, -0.5, v61, v57
	v_add_f32_e32 v57, v65, v66
	v_fma_f32 v67, v60, v40, -v86
	v_fma_f32 v70, v48, v42, -v88
	v_fma_f32 v62, v62, v32, -v90
	v_fmac_f32_e32 v91, v63, v32
	v_fmac_f32_e32 v93, v51, v34
	s_waitcnt vmcnt(0)
	v_mul_f32_e32 v96, v3, v29
	v_mul_f32_e32 v100, v2, v29
	;; [unrolled: 1-line block ×4, first 2 shown]
	v_add_f32_e32 v48, v56, v68
	v_sub_f32_e32 v63, v68, v64
	v_fma_f32 v60, -0.5, v49, v56
	v_add_f32_e32 v56, v58, v65
	v_sub_f32_e32 v74, v69, v84
	v_add_f32_e32 v68, v69, v84
	v_fma_f32 v58, -0.5, v57, v58
	v_fma_f32 v2, v2, v28, -v96
	v_fmac_f32_e32 v100, v3, v28
	v_fma_f32 v3, v72, v30, -v101
	v_fmac_f32_e32 v102, v73, v30
	v_sub_f32_e32 v51, v75, v85
	v_add_f32_e32 v48, v48, v64
	v_add_f32_e32 v49, v50, v85
	;; [unrolled: 1-line block ×3, first 2 shown]
	v_sub_f32_e32 v75, v65, v66
	v_add_f32_e32 v65, v52, v67
	v_add_f32_e32 v69, v67, v70
	v_sub_f32_e32 v85, v87, v89
	v_add_f32_e32 v86, v53, v87
	v_add_f32_e32 v87, v87, v89
	;; [unrolled: 3-line block ×4, first 2 shown]
	v_sub_f32_e32 v95, v62, v71
	v_add_f32_e32 v62, v56, v66
	v_fmac_f32_e32 v59, -0.5, v68
	v_fmamk_f32 v56, v74, 0x3f5db3d7, v58
	v_fmac_f32_e32 v58, 0xbf5db3d7, v74
	v_add_f32_e32 v72, v2, v3
	v_add_f32_e32 v74, v100, v102
	v_fmamk_f32 v50, v51, 0x3f5db3d7, v60
	v_fmac_f32_e32 v60, 0xbf5db3d7, v51
	v_fmamk_f32 v51, v63, 0xbf5db3d7, v61
	v_fmac_f32_e32 v61, 0x3f5db3d7, v63
	v_add_f32_e32 v63, v64, v84
	v_add_f32_e32 v68, v65, v70
	v_fma_f32 v64, -0.5, v69, v52
	v_fma_f32 v65, -0.5, v87, v53
	;; [unrolled: 1-line block ×3, first 2 shown]
	v_fmac_f32_e32 v55, -0.5, v91
	v_fmamk_f32 v57, v75, 0xbf5db3d7, v59
	v_fmac_f32_e32 v59, 0x3f5db3d7, v75
	v_add_f32_e32 v73, v0, v2
	v_sub_f32_e32 v75, v100, v102
	v_add_f32_e32 v84, v1, v100
	v_fmac_f32_e32 v0, -0.5, v72
	v_sub_f32_e32 v2, v2, v3
	v_fmac_f32_e32 v1, -0.5, v74
	v_add_f32_e32 v69, v86, v89
	v_add_f32_e32 v66, v67, v71
	;; [unrolled: 1-line block ×3, first 2 shown]
	v_fmamk_f32 v70, v85, 0x3f5db3d7, v64
	v_fmac_f32_e32 v64, 0xbf5db3d7, v85
	v_fmamk_f32 v71, v88, 0xbf5db3d7, v65
	v_fmac_f32_e32 v65, 0x3f5db3d7, v88
	;; [unrolled: 2-line block ×4, first 2 shown]
	v_add_f32_e32 v72, v73, v3
	v_add_f32_e32 v73, v84, v102
	v_fmamk_f32 v74, v75, 0x3f5db3d7, v0
	v_fmac_f32_e32 v0, 0xbf5db3d7, v75
	v_fmamk_f32 v75, v2, 0xbf5db3d7, v1
	v_fmac_f32_e32 v1, 0x3f5db3d7, v2
	ds_write2_b64 v97, v[48:49], v[62:63] offset1:51
	ds_write2_b64 v83, v[50:51], v[56:57] offset0:93 offset1:144
	ds_write2_b64 v81, v[60:61], v[58:59] offset0:186 offset1:237
	;; [unrolled: 1-line block ×5, first 2 shown]
	s_and_saveexec_b32 s1, s0
	s_cbranch_execz .LBB0_11
; %bb.10:
	v_add_nc_u32_e32 v2, 0x600, v97
	ds_write2_b64 v2, v[72:73], v[74:75] offset0:12 offset1:233
	ds_write_b64 v97, v[0:1] offset:5168
.LBB0_11:
	s_or_b32 exec_lo, exec_lo, s1
	s_waitcnt lgkmcnt(0)
	s_barrier
	buffer_gl0_inv
	s_and_saveexec_b32 s2, vcc_lo
	s_cbranch_execz .LBB0_13
; %bb.12:
	v_add_co_u32 v85, s1, s12, v97
	v_add_co_ci_u32_e64 v86, null, s13, 0, s1
	v_add_nc_u32_e32 v148, 0x800, v97
	v_add_co_u32 v2, s1, 0x1000, v85
	v_add_co_ci_u32_e64 v3, s1, 0, v86, s1
	v_add_co_u32 v81, s1, 0x14b8, v85
	v_add_co_ci_u32_e64 v82, s1, 0, v86, s1
	global_load_dwordx2 v[2:3], v[2:3], off offset:1208
	v_add_co_u32 v83, s1, 0x1800, v85
	v_add_co_ci_u32_e64 v84, s1, 0, v86, s1
	s_clause 0x6
	global_load_dwordx2 v[116:117], v[81:82], off offset:312
	global_load_dwordx2 v[118:119], v[81:82], off offset:624
	;; [unrolled: 1-line block ×7, first 2 shown]
	v_add_co_u32 v81, s1, 0x2000, v85
	v_add_co_ci_u32_e64 v82, s1, 0, v86, s1
	s_clause 0x5
	global_load_dwordx2 v[130:131], v[83:84], off offset:1656
	global_load_dwordx2 v[132:133], v[83:84], off offset:1968
	;; [unrolled: 1-line block ×6, first 2 shown]
	v_add_co_u32 v83, s1, 0x2800, v85
	v_add_co_ci_u32_e64 v84, s1, 0, v86, s1
	s_clause 0x2
	global_load_dwordx2 v[142:143], v[81:82], off offset:1480
	global_load_dwordx2 v[144:145], v[81:82], off offset:1792
	;; [unrolled: 1-line block ×3, first 2 shown]
	ds_read_b64 v[81:82], v97
	v_add_nc_u32_e32 v149, 0xc00, v97
	v_add_nc_u32_e32 v150, 0x1000, v97
	s_waitcnt vmcnt(16) lgkmcnt(0)
	v_mul_f32_e32 v83, v82, v3
	v_mul_f32_e32 v84, v81, v3
	v_fma_f32 v83, v81, v2, -v83
	v_fmac_f32_e32 v84, v82, v2
	ds_write_b64 v97, v[83:84]
	ds_read2_b64 v[81:84], v97 offset0:39 offset1:78
	ds_read2_b64 v[85:88], v97 offset0:117 offset1:156
	;; [unrolled: 1-line block ×8, first 2 shown]
	s_waitcnt vmcnt(7) lgkmcnt(3)
	v_mul_f32_e32 v158, v101, v133
	v_mul_f32_e32 v2, v82, v117
	;; [unrolled: 1-line block ×18, first 2 shown]
	s_waitcnt vmcnt(6)
	v_mul_f32_e32 v159, v103, v135
	v_mul_f32_e32 v133, v102, v135
	s_waitcnt vmcnt(5) lgkmcnt(2)
	v_mul_f32_e32 v160, v105, v137
	v_mul_f32_e32 v135, v104, v137
	s_waitcnt vmcnt(4)
	v_mul_f32_e32 v161, v107, v139
	v_mul_f32_e32 v137, v106, v139
	s_waitcnt vmcnt(3) lgkmcnt(1)
	v_mul_f32_e32 v162, v109, v141
	v_mul_f32_e32 v139, v108, v141
	;; [unrolled: 6-line block ×3, first 2 shown]
	s_waitcnt vmcnt(0)
	v_mul_f32_e32 v165, v115, v147
	v_mul_f32_e32 v145, v114, v147
	v_fma_f32 v2, v81, v116, -v2
	v_fmac_f32_e32 v3, v82, v116
	v_fma_f32 v116, v83, v118, -v151
	v_fmac_f32_e32 v117, v84, v118
	;; [unrolled: 2-line block ×16, first 2 shown]
	ds_write2_b64 v97, v[2:3], v[116:117] offset0:39 offset1:78
	ds_write2_b64 v97, v[118:119], v[120:121] offset0:117 offset1:156
	ds_write2_b64 v97, v[122:123], v[124:125] offset0:195 offset1:234
	ds_write2_b64 v148, v[128:129], v[126:127] offset0:17 offset1:56
	ds_write2_b64 v148, v[130:131], v[132:133] offset0:95 offset1:134
	ds_write2_b64 v148, v[134:135], v[136:137] offset0:173 offset1:212
	ds_write2_b64 v149, v[138:139], v[140:141] offset0:123 offset1:162
	ds_write2_b64 v150, v[142:143], v[144:145] offset0:73 offset1:112
.LBB0_13:
	s_or_b32 exec_lo, exec_lo, s2
	s_waitcnt lgkmcnt(0)
	s_barrier
	buffer_gl0_inv
	s_and_saveexec_b32 s1, vcc_lo
	s_cbranch_execz .LBB0_15
; %bb.14:
	v_add_nc_u32_e32 v0, 0x1000, v97
	v_add_nc_u32_e32 v52, 0x400, v97
	ds_read2_b64 v[48:51], v97 offset1:39
	ds_read2_b64 v[60:63], v97 offset0:78 offset1:117
	v_add_nc_u32_e32 v72, 0x800, v97
	ds_read2_b64 v[0:3], v0 offset0:34 offset1:73
	ds_read2_b64 v[56:59], v97 offset0:156 offset1:195
	ds_read_b64 v[77:78], v97 offset:4992
	ds_read2_b64 v[68:71], v52 offset0:106 offset1:145
	ds_read2_b64 v[64:67], v72 offset0:56 offset1:95
	;; [unrolled: 1-line block ×4, first 2 shown]
	s_waitcnt lgkmcnt(6)
	v_mov_b32_e32 v79, v2
	v_mov_b32_e32 v80, v3
.LBB0_15:
	s_or_b32 exec_lo, exec_lo, s1
	s_waitcnt lgkmcnt(4)
	v_sub_f32_e32 v95, v51, v78
	v_add_f32_e32 v96, v78, v51
	v_add_f32_e32 v100, v77, v50
	v_sub_f32_e32 v116, v61, v80
	v_sub_f32_e32 v102, v50, v77
	v_mul_f32_e32 v91, 0xbf65296c, v95
	v_mul_f32_e32 v92, 0x3ee437d1, v96
	v_add_f32_e32 v101, v79, v60
	v_add_f32_e32 v120, v80, v61
	v_mul_f32_e32 v93, 0xbf4c4adb, v116
	v_fma_f32 v2, 0x3ee437d1, v100, -v91
	v_fmamk_f32 v3, v102, 0xbf65296c, v92
	v_mul_f32_e32 v200, 0xbf7ee86f, v95
	v_sub_f32_e32 v103, v60, v79
	v_fma_f32 v83, 0xbf1a4643, v101, -v93
	v_add_f32_e32 v2, v48, v2
	v_mul_f32_e32 v183, 0xbf1a4643, v120
	v_add_f32_e32 v3, v49, v3
	v_fma_f32 v81, 0x3dbcf732, v100, -v200
	v_mul_f32_e32 v203, 0xbe3c28d5, v116
	v_add_f32_e32 v2, v83, v2
	v_fmamk_f32 v83, v103, 0xbf4c4adb, v183
	v_add_f32_e32 v123, v1, v63
	v_mul_f32_e32 v89, 0x3dbcf732, v96
	v_add_f32_e32 v81, v48, v81
	v_sub_f32_e32 v117, v63, v1
	v_add_f32_e32 v3, v83, v3
	v_fma_f32 v83, 0xbf7ba420, v101, -v203
	v_sub_f32_e32 v105, v62, v0
	v_mul_f32_e32 v197, 0xbf7ba420, v123
	v_fmamk_f32 v82, v102, 0xbf7ee86f, v89
	v_mul_f32_e32 v90, 0xbf7ba420, v120
	v_add_f32_e32 v104, v0, v62
	v_add_f32_e32 v81, v83, v81
	v_fmamk_f32 v83, v105, 0x3e3c28d5, v197
	v_mul_f32_e32 v207, 0x3f763a35, v117
	s_waitcnt lgkmcnt(0)
	v_add_f32_e32 v125, v75, v57
	v_add_f32_e32 v82, v49, v82
	v_mul_f32_e32 v94, 0x3e3c28d5, v117
	v_fmamk_f32 v84, v103, 0xbe3c28d5, v90
	v_sub_f32_e32 v118, v57, v75
	v_mul_f32_e32 v213, 0xbe8c1d8e, v123
	v_add_f32_e32 v3, v83, v3
	v_fma_f32 v83, 0xbe8c1d8e, v104, -v207
	v_sub_f32_e32 v107, v56, v74
	v_mul_f32_e32 v199, 0xbe8c1d8e, v125
	v_add_f32_e32 v128, v73, v59
	v_fma_f32 v85, 0xbf7ba420, v104, -v94
	v_add_f32_e32 v82, v84, v82
	v_add_f32_e32 v106, v74, v56
	v_mul_f32_e32 v165, 0x3f763a35, v118
	v_fmamk_f32 v84, v105, 0x3f763a35, v213
	v_add_f32_e32 v81, v83, v81
	v_sub_f32_e32 v119, v59, v73
	v_fmamk_f32 v83, v107, 0x3f763a35, v199
	v_mul_f32_e32 v208, 0x3eb8f4ab, v118
	v_sub_f32_e32 v109, v58, v72
	v_mul_f32_e32 v202, 0x3f3d2fb0, v128
	v_add_f32_e32 v129, v55, v69
	v_add_f32_e32 v2, v85, v2
	v_fma_f32 v85, 0xbe8c1d8e, v106, -v165
	v_add_f32_e32 v82, v84, v82
	v_mul_f32_e32 v215, 0x3f6eb680, v125
	v_add_f32_e32 v108, v72, v58
	v_mul_f32_e32 v182, 0x3f2c7751, v119
	v_fma_f32 v84, 0x3f6eb680, v106, -v208
	v_add_f32_e32 v3, v83, v3
	v_fmamk_f32 v83, v109, 0x3f2c7751, v202
	v_sub_f32_e32 v121, v69, v55
	v_mul_f32_e32 v210, 0xbf65296c, v119
	v_sub_f32_e32 v111, v68, v54
	v_mul_f32_e32 v204, 0x3f6eb680, v129
	v_add_f32_e32 v2, v85, v2
	v_fmamk_f32 v85, v107, 0x3eb8f4ab, v215
	v_fma_f32 v86, 0x3f3d2fb0, v108, -v182
	v_add_f32_e32 v81, v84, v81
	v_mul_f32_e32 v216, 0x3ee437d1, v128
	v_add_f32_e32 v110, v54, v68
	v_mul_f32_e32 v198, 0xbeb8f4ab, v121
	v_fma_f32 v84, 0x3ee437d1, v108, -v210
	v_add_f32_e32 v3, v83, v3
	v_fmamk_f32 v83, v111, 0xbeb8f4ab, v204
	v_mul_f32_e32 v211, 0xbf06c442, v121
	v_sub_f32_e32 v122, v71, v53
	v_add_f32_e32 v126, v53, v71
	v_add_f32_e32 v82, v85, v82
	;; [unrolled: 1-line block ×3, first 2 shown]
	v_fmamk_f32 v85, v109, 0xbf65296c, v216
	v_fma_f32 v86, 0x3f6eb680, v110, -v198
	v_add_f32_e32 v81, v84, v81
	v_add_f32_e32 v3, v83, v3
	v_mul_f32_e32 v218, 0xbf59a7d5, v129
	v_fma_f32 v83, 0xbf59a7d5, v110, -v211
	v_add_f32_e32 v112, v52, v70
	v_sub_f32_e32 v113, v70, v52
	v_mul_f32_e32 v205, 0x3dbcf732, v126
	v_mul_f32_e32 v212, 0x3f4c4adb, v122
	v_add_f32_e32 v82, v85, v82
	v_add_f32_e32 v2, v86, v2
	v_mul_f32_e32 v201, 0xbf7ee86f, v122
	v_fmamk_f32 v84, v111, 0xbf06c442, v218
	v_add_f32_e32 v81, v83, v81
	v_fmamk_f32 v83, v113, 0xbf7ee86f, v205
	v_fma_f32 v86, 0xbf1a4643, v112, -v212
	v_mul_f32_e32 v219, 0xbf1a4643, v126
	v_sub_f32_e32 v124, v65, v67
	v_add_f32_e32 v127, v67, v65
	v_fma_f32 v85, 0x3dbcf732, v112, -v201
	v_add_f32_e32 v82, v84, v82
	v_add_f32_e32 v3, v83, v3
	;; [unrolled: 1-line block ×3, first 2 shown]
	v_fmamk_f32 v81, v113, 0x3f4c4adb, v219
	v_add_f32_e32 v114, v66, v64
	v_sub_f32_e32 v115, v64, v66
	v_mul_f32_e32 v206, 0xbf06c442, v124
	v_mul_f32_e32 v209, 0xbf59a7d5, v127
	;; [unrolled: 1-line block ×4, first 2 shown]
	v_add_f32_e32 v2, v85, v2
	v_add_f32_e32 v84, v81, v82
	v_fma_f32 v81, 0xbf59a7d5, v114, -v206
	v_fmamk_f32 v82, v115, 0xbf06c442, v209
	v_fma_f32 v85, 0x3f3d2fb0, v114, -v214
	v_fmamk_f32 v86, v115, 0x3f2c7751, v217
	v_add_f32_e32 v81, v81, v2
	v_add_f32_e32 v82, v82, v3
	;; [unrolled: 1-line block ×4, first 2 shown]
	s_barrier
	buffer_gl0_inv
	s_and_saveexec_b32 s1, vcc_lo
	s_cbranch_execz .LBB0_17
; %bb.16:
	v_mul_f32_e32 v131, 0xbf7ba420, v96
	v_mul_f32_e32 v132, 0x3f6eb680, v120
	v_mul_f32_e32 v133, 0xbe3c28d5, v95
	v_mul_f32_e32 v134, 0xbf59a7d5, v123
	v_mul_f32_e32 v135, 0x3eb8f4ab, v116
	v_fmamk_f32 v83, v102, 0x3e3c28d5, v131
	v_fmamk_f32 v84, v103, 0xbeb8f4ab, v132
	v_mul_f32_e32 v136, 0x3f3d2fb0, v125
	v_fmamk_f32 v85, v100, 0xbf7ba420, v133
	v_fmamk_f32 v86, v105, 0x3f06c442, v134
	v_add_f32_e32 v83, v49, v83
	v_mul_f32_e32 v138, 0xbf06c442, v117
	v_mul_f32_e32 v139, 0xbf1a4643, v128
	v_add_f32_e32 v85, v48, v85
	v_fmamk_f32 v87, v107, 0xbf2c7751, v136
	v_add_f32_e32 v83, v84, v83
	v_fmamk_f32 v84, v101, 0x3f6eb680, v135
	v_mul_f32_e32 v142, 0x3f2c7751, v118
	v_mul_f32_e32 v137, 0x3ee437d1, v129
	;; [unrolled: 1-line block ×3, first 2 shown]
	v_add_f32_e32 v83, v86, v83
	v_fmamk_f32 v86, v104, 0xbf59a7d5, v138
	v_add_f32_e32 v84, v84, v85
	v_fmamk_f32 v85, v109, 0x3f4c4adb, v139
	v_mul_f32_e32 v143, 0xbe8c1d8e, v126
	v_add_f32_e32 v83, v87, v83
	v_fmamk_f32 v87, v106, 0x3f3d2fb0, v142
	v_add_f32_e32 v84, v86, v84
	v_fmamk_f32 v86, v111, 0xbf65296c, v137
	v_mul_f32_e32 v145, 0x3f65296c, v121
	v_add_f32_e32 v83, v85, v83
	v_fmamk_f32 v85, v108, 0xbf1a4643, v141
	v_add_f32_e32 v84, v87, v84
	v_mul_f32_e32 v144, 0x3dbcf732, v127
	v_mul_f32_e32 v158, 0xbf59a7d5, v96
	v_add_f32_e32 v83, v86, v83
	v_fmamk_f32 v86, v113, 0x3f763a35, v143
	v_add_f32_e32 v84, v85, v84
	v_fmamk_f32 v85, v110, 0x3ee437d1, v145
	v_mul_f32_e32 v159, 0x3ee437d1, v120
	v_mul_f32_e32 v160, 0xbf06c442, v95
	v_add_f32_e32 v83, v86, v83
	v_fmamk_f32 v86, v115, 0xbf7ee86f, v144
	v_add_f32_e32 v85, v85, v84
	v_mul_f32_e32 v161, 0x3dbcf732, v123
	v_fmamk_f32 v88, v100, 0xbf59a7d5, v160
	v_mul_f32_e32 v162, 0x3f65296c, v116
	v_add_f32_e32 v84, v86, v83
	v_fmamk_f32 v83, v102, 0x3f06c442, v158
	v_fmamk_f32 v86, v103, 0xbf65296c, v159
	v_mul_f32_e32 v163, 0xbf1a4643, v125
	v_add_f32_e32 v88, v48, v88
	v_fmamk_f32 v146, v101, 0x3ee437d1, v162
	v_add_f32_e32 v83, v49, v83
	v_mul_f32_e32 v164, 0xbf7ee86f, v117
	v_mul_f32_e32 v149, 0x3f6eb680, v128
	;; [unrolled: 1-line block ×3, first 2 shown]
	v_add_f32_e32 v88, v146, v88
	v_add_f32_e32 v83, v86, v83
	v_fmamk_f32 v86, v105, 0x3f7ee86f, v161
	v_fmamk_f32 v146, v104, 0x3dbcf732, v164
	v_mul_f32_e32 v130, 0xbf763a35, v122
	v_mul_f32_e32 v150, 0xbf7ba420, v129
	v_mul_f32_e32 v154, 0xbeb8f4ab, v119
	v_add_f32_e32 v83, v86, v83
	v_fmamk_f32 v86, v107, 0xbf4c4adb, v163
	v_add_f32_e32 v88, v146, v88
	v_fmamk_f32 v146, v106, 0xbf1a4643, v153
	v_fmamk_f32 v87, v112, 0xbe8c1d8e, v130
	v_mul_f32_e32 v140, 0x3f7ee86f, v124
	v_add_f32_e32 v83, v86, v83
	v_fmamk_f32 v86, v109, 0x3eb8f4ab, v149
	v_mul_f32_e32 v151, 0x3f3d2fb0, v126
	v_add_f32_e32 v88, v146, v88
	;; [unrolled: 3-line block ×3, first 2 shown]
	v_fmamk_f32 v86, v111, 0x3e3c28d5, v150
	v_add_f32_e32 v85, v87, v85
	v_fmamk_f32 v87, v114, 0x3dbcf732, v140
	v_add_f32_e32 v88, v146, v88
	;; [unrolled: 2-line block ×3, first 2 shown]
	v_fmamk_f32 v86, v113, 0xbf2c7751, v151
	v_mul_f32_e32 v146, 0x3f2c7751, v122
	v_mul_f32_e32 v173, 0xbf1a4643, v96
	v_add_f32_e32 v88, v147, v88
	v_mul_f32_e32 v174, 0xbe8c1d8e, v120
	v_add_f32_e32 v86, v86, v83
	v_fmamk_f32 v147, v112, 0x3f3d2fb0, v146
	v_add_f32_e32 v83, v87, v85
	v_fmamk_f32 v85, v102, 0x3f4c4adb, v173
	v_mul_f32_e32 v171, 0xbf4c4adb, v95
	v_mul_f32_e32 v193, 0x3f6eb680, v123
	v_add_f32_e32 v87, v147, v88
	v_fmamk_f32 v88, v103, 0xbf763a35, v174
	v_add_f32_e32 v85, v49, v85
	v_fmamk_f32 v156, v100, 0xbf1a4643, v171
	v_mul_f32_e32 v172, 0x3f763a35, v116
	v_mul_f32_e32 v179, 0xbf59a7d5, v125
	;; [unrolled: 1-line block ×3, first 2 shown]
	v_add_f32_e32 v85, v88, v85
	v_fmamk_f32 v88, v105, 0x3eb8f4ab, v193
	v_add_f32_e32 v156, v48, v156
	v_fmamk_f32 v157, v101, 0xbe8c1d8e, v172
	v_mul_f32_e32 v152, 0xbe8c1d8e, v127
	v_mul_f32_e32 v180, 0x3dbcf732, v128
	v_add_f32_e32 v85, v88, v85
	v_fmamk_f32 v88, v107, 0x3f06c442, v179
	v_add_f32_e32 v156, v157, v156
	v_fmamk_f32 v157, v104, 0x3f6eb680, v176
	v_mul_f32_e32 v166, 0xbf06c442, v118
	v_fmamk_f32 v148, v115, 0x3f763a35, v152
	v_add_f32_e32 v85, v88, v85
	v_fmamk_f32 v88, v109, 0xbf7ee86f, v180
	v_mul_f32_e32 v168, 0x3f3d2fb0, v129
	v_add_f32_e32 v156, v157, v156
	v_fmamk_f32 v157, v106, 0xbf59a7d5, v166
	v_mul_f32_e32 v167, 0x3f7ee86f, v119
	v_add_f32_e32 v86, v148, v86
	v_mul_f32_e32 v148, 0xbf763a35, v124
	v_add_f32_e32 v85, v88, v85
	v_fmamk_f32 v88, v111, 0x3f2c7751, v168
	v_mul_f32_e32 v169, 0xbf7ba420, v126
	v_add_f32_e32 v157, v157, v156
	v_fmamk_f32 v175, v108, 0x3dbcf732, v167
	v_mul_f32_e32 v156, 0xbf2c7751, v121
	v_fmamk_f32 v147, v114, 0xbe8c1d8e, v148
	v_add_f32_e32 v85, v88, v85
	v_fmamk_f32 v88, v113, 0x3e3c28d5, v169
	v_add_f32_e32 v175, v175, v157
	v_fmamk_f32 v178, v110, 0x3f3d2fb0, v156
	v_mul_f32_e32 v157, 0xbe3c28d5, v122
	v_mul_f32_e32 v191, 0xbe8c1d8e, v96
	v_mul_f32_e32 v170, 0x3ee437d1, v127
	v_add_f32_e32 v88, v88, v85
	v_add_f32_e32 v175, v178, v175
	v_fmamk_f32 v178, v112, 0xbf7ba420, v157
	v_add_f32_e32 v85, v147, v87
	v_fmamk_f32 v87, v102, 0x3f763a35, v191
	v_mul_f32_e32 v192, 0xbf59a7d5, v120
	v_mul_f32_e32 v194, 0xbf763a35, v95
	v_fmamk_f32 v181, v115, 0xbf65296c, v170
	v_add_f32_e32 v187, v178, v175
	v_add_f32_e32 v87, v49, v87
	v_fmamk_f32 v175, v103, 0xbf06c442, v192
	v_mul_f32_e32 v195, 0x3f3d2fb0, v123
	v_fmamk_f32 v178, v100, 0xbe8c1d8e, v194
	v_mul_f32_e32 v196, 0x3f06c442, v116
	v_add_f32_e32 v88, v181, v88
	v_add_f32_e32 v87, v175, v87
	v_fmamk_f32 v175, v105, 0xbf2c7751, v195
	v_mul_f32_e32 v181, 0x3ee437d1, v125
	v_add_f32_e32 v185, v48, v178
	v_fmamk_f32 v186, v101, 0xbf59a7d5, v196
	v_mul_f32_e32 v184, 0x3f2c7751, v117
	v_mul_f32_e32 v147, 0x3f65296c, v124
	v_add_f32_e32 v87, v175, v87
	v_fmamk_f32 v175, v107, 0x3f65296c, v181
	v_mul_f32_e32 v178, 0xbf7ba420, v128
	v_add_f32_e32 v186, v186, v185
	v_fmamk_f32 v189, v104, 0x3f3d2fb0, v184
	v_mul_f32_e32 v185, 0xbf65296c, v118
	v_mul_f32_e32 v177, 0xbf7ee86f, v102
	v_fmamk_f32 v188, v114, 0x3ee437d1, v147
	v_add_f32_e32 v87, v175, v87
	v_fmamk_f32 v221, v109, 0x3e3c28d5, v178
	v_mul_f32_e32 v175, 0x3dbcf732, v129
	v_add_f32_e32 v189, v189, v186
	v_fmamk_f32 v222, v106, 0x3ee437d1, v185
	v_mul_f32_e32 v186, 0xbe3c28d5, v119
	v_mul_f32_e32 v190, 0xbe3c28d5, v103
	v_add_f32_e32 v221, v221, v87
	v_fmamk_f32 v223, v111, 0xbf7ee86f, v175
	v_add_f32_e32 v87, v188, v187
	v_add_f32_e32 v189, v222, v189
	v_fmamk_f32 v222, v108, 0xbf7ba420, v186
	v_mul_f32_e32 v187, 0x3f7ee86f, v121
	v_sub_f32_e32 v89, v89, v177
	v_mul_f32_e32 v220, 0x3f763a35, v105
	v_add_f32_e32 v221, v223, v221
	v_mul_f32_e32 v188, 0x3f6eb680, v126
	v_add_f32_e32 v222, v222, v189
	v_fmamk_f32 v223, v110, 0x3dbcf732, v187
	v_mul_f32_e32 v189, 0xbeb8f4ab, v122
	v_add_f32_e32 v89, v49, v89
	v_sub_f32_e32 v90, v90, v190
	v_fmamk_f32 v224, v113, 0x3eb8f4ab, v188
	v_mul_f32_e32 v177, 0xbf1a4643, v127
	v_add_f32_e32 v222, v223, v222
	v_fmamk_f32 v223, v112, 0x3f6eb680, v189
	v_add_f32_e32 v89, v90, v89
	v_mul_f32_e32 v190, 0xbf4c4adb, v124
	v_sub_f32_e32 v90, v213, v220
	v_mul_f32_e32 v213, 0x3eb8f4ab, v107
	v_add_f32_e32 v220, v224, v221
	v_fmamk_f32 v221, v115, 0x3f4c4adb, v177
	v_add_f32_e32 v222, v223, v222
	v_fmamk_f32 v223, v114, 0xbf1a4643, v190
	v_sub_f32_e32 v213, v215, v213
	v_mul_f32_e32 v215, 0x3dbcf732, v100
	v_add_f32_e32 v224, v90, v89
	v_add_f32_e32 v90, v221, v220
	;; [unrolled: 1-line block ×3, first 2 shown]
	v_mul_f32_e32 v221, 0xbf65296c, v109
	v_mul_f32_e32 v222, 0xbf7ba420, v101
	v_add_f32_e32 v200, v215, v200
	v_add_f32_e32 v213, v213, v224
	v_mul_f32_e32 v220, 0xbf65296c, v102
	v_sub_f32_e32 v216, v216, v221
	v_add_f32_e32 v203, v222, v203
	v_add_f32_e32 v200, v48, v200
	v_mul_f32_e32 v221, 0xbf06c442, v111
	v_mul_f32_e32 v222, 0xbf4c4adb, v103
	v_add_f32_e32 v213, v216, v213
	v_mul_f32_e32 v216, 0xbe8c1d8e, v104
	v_add_f32_e32 v200, v203, v200
	v_mul_f32_e32 v203, 0x3f4c4adb, v113
	v_sub_f32_e32 v92, v92, v220
	v_sub_f32_e32 v218, v218, v221
	v_add_f32_e32 v207, v216, v207
	v_mul_f32_e32 v216, 0x3e3c28d5, v105
	v_sub_f32_e32 v203, v219, v203
	v_mul_f32_e32 v219, 0x3f6eb680, v106
	v_sub_f32_e32 v183, v183, v222
	v_add_f32_e32 v200, v207, v200
	v_add_f32_e32 v92, v49, v92
	;; [unrolled: 1-line block ×4, first 2 shown]
	v_mul_f32_e32 v219, 0x3ee437d1, v108
	v_mul_f32_e32 v207, 0x3f763a35, v107
	v_add_f32_e32 v92, v183, v92
	v_mul_f32_e32 v183, 0xbf59a7d5, v110
	v_add_f32_e32 v200, v208, v200
	v_add_f32_e32 v210, v219, v210
	v_sub_f32_e32 v197, v197, v216
	v_mul_f32_e32 v225, 0x3ee437d1, v100
	v_mul_f32_e32 v222, 0x3f2c7751, v109
	v_add_f32_e32 v183, v183, v211
	v_add_f32_e32 v200, v210, v200
	;; [unrolled: 1-line block ×3, first 2 shown]
	v_mul_f32_e32 v213, 0xbf1a4643, v112
	v_add_f32_e32 v197, v197, v92
	v_sub_f32_e32 v199, v199, v207
	v_mul_f32_e32 v215, 0xbf1a4643, v101
	v_mul_f32_e32 v219, 0xbeb8f4ab, v111
	;; [unrolled: 1-line block ×3, first 2 shown]
	v_add_f32_e32 v183, v183, v200
	v_add_f32_e32 v200, v213, v212
	v_add_f32_e32 v91, v225, v91
	v_add_f32_e32 v197, v199, v197
	v_sub_f32_e32 v199, v202, v222
	v_mul_f32_e32 v221, 0xbf7ba420, v104
	v_mul_f32_e32 v210, 0x3f2c7751, v115
	v_add_f32_e32 v183, v200, v183
	v_add_f32_e32 v91, v48, v91
	;; [unrolled: 1-line block ×5, first 2 shown]
	v_sub_f32_e32 v199, v204, v219
	v_mul_f32_e32 v202, 0x3f3d2fb0, v96
	v_mul_f32_e32 v218, 0xbe8c1d8e, v106
	;; [unrolled: 1-line block ×3, first 2 shown]
	v_sub_f32_e32 v210, v217, v210
	v_add_f32_e32 v93, v93, v91
	v_add_f32_e32 v94, v221, v94
	;; [unrolled: 1-line block ×4, first 2 shown]
	v_fmamk_f32 v197, v102, 0x3f2c7751, v202
	v_mul_f32_e32 v199, 0x3dbcf732, v120
	v_mul_f32_e32 v220, 0x3f3d2fb0, v108
	v_add_f32_e32 v92, v210, v203
	v_add_f32_e32 v93, v94, v93
	;; [unrolled: 1-line block ×3, first 2 shown]
	v_sub_f32_e32 v165, v205, v211
	v_add_f32_e32 v197, v49, v197
	v_fmamk_f32 v200, v103, 0x3f7ee86f, v199
	v_mul_f32_e32 v203, 0xbf1a4643, v123
	v_mul_f32_e32 v208, 0x3f6eb680, v110
	;; [unrolled: 1-line block ×3, first 2 shown]
	v_add_f32_e32 v93, v94, v93
	v_add_f32_e32 v94, v220, v182
	;; [unrolled: 1-line block ×4, first 2 shown]
	v_fmamk_f32 v183, v105, 0x3f4c4adb, v203
	v_mul_f32_e32 v197, 0xbf7ba420, v125
	v_add_f32_e32 v93, v94, v93
	v_add_f32_e32 v94, v208, v198
	v_sub_f32_e32 v198, v209, v223
	v_add_f32_e32 v182, v183, v182
	v_fmamk_f32 v183, v107, 0x3e3c28d5, v197
	v_mul_f32_e32 v200, 0xbf59a7d5, v128
	v_add_f32_e32 v93, v94, v93
	v_add_f32_e32 v94, v198, v165
	v_mul_f32_e32 v217, 0xbf59a7d5, v114
	v_add_f32_e32 v165, v183, v182
	v_fmamk_f32 v182, v109, 0xbf06c442, v200
	v_mul_f32_e32 v183, 0xbe8c1d8e, v129
	v_mul_f32_e32 v204, 0x3ee437d1, v126
	v_add_f32_e32 v198, v217, v206
	v_add_f32_e32 v51, v51, v49
	;; [unrolled: 1-line block ×3, first 2 shown]
	v_fmamk_f32 v182, v111, 0xbf763a35, v183
	v_fmamk_f32 v206, v113, 0xbf65296c, v204
	v_mul_f32_e32 v209, 0x3f6eb680, v96
	v_add_f32_e32 v51, v61, v51
	v_add_f32_e32 v50, v50, v48
	;; [unrolled: 1-line block ×3, first 2 shown]
	v_mul_f32_e32 v165, 0x3f6eb680, v127
	v_mul_f32_e32 v120, 0x3f3d2fb0, v120
	v_add_f32_e32 v51, v63, v51
	v_add_f32_e32 v50, v60, v50
	;; [unrolled: 1-line block ×3, first 2 shown]
	v_fmamk_f32 v206, v115, 0xbeb8f4ab, v165
	v_fmamk_f32 v211, v103, 0x3f2c7751, v120
	v_mul_f32_e32 v123, 0x3ee437d1, v123
	v_mul_f32_e32 v61, 0xbeb8f4ab, v95
	v_add_f32_e32 v51, v57, v51
	v_add_f32_e32 v96, v206, v182
	v_fmamk_f32 v182, v102, 0x3eb8f4ab, v209
	v_add_f32_e32 v50, v62, v50
	v_mul_f32_e32 v125, 0x3dbcf732, v125
	v_fmamk_f32 v60, v100, 0x3f6eb680, v61
	v_mul_f32_e32 v63, 0xbf2c7751, v116
	v_add_f32_e32 v182, v49, v182
	v_add_f32_e32 v51, v59, v51
	;; [unrolled: 1-line block ×3, first 2 shown]
	v_mul_f32_e32 v128, 0xbe8c1d8e, v128
	v_add_f32_e32 v57, v48, v60
	v_add_f32_e32 v182, v211, v182
	v_fmamk_f32 v211, v105, 0x3f65296c, v123
	v_fmamk_f32 v60, v101, 0x3f3d2fb0, v63
	v_mul_f32_e32 v62, 0xbf65296c, v117
	v_add_f32_e32 v51, v69, v51
	v_add_f32_e32 v50, v58, v50
	;; [unrolled: 1-line block ×3, first 2 shown]
	v_fmamk_f32 v211, v107, 0x3f7ee86f, v125
	v_mul_f32_e32 v129, 0xbf1a4643, v129
	v_add_f32_e32 v57, v60, v57
	v_fmamk_f32 v59, v104, 0x3ee437d1, v62
	v_mul_f32_e32 v60, 0xbf7ee86f, v118
	v_add_f32_e32 v182, v211, v182
	v_fmamk_f32 v211, v109, 0x3f763a35, v128
	v_add_f32_e32 v51, v71, v51
	v_add_f32_e32 v50, v68, v50
	v_mul_f32_e32 v205, 0xbf7ee86f, v116
	v_mul_f32_e32 v116, 0xbf59a7d5, v126
	v_add_f32_e32 v182, v211, v182
	v_fmamk_f32 v211, v111, 0x3f4c4adb, v129
	v_add_f32_e32 v57, v59, v57
	v_fmamk_f32 v58, v106, 0x3dbcf732, v60
	v_mul_f32_e32 v68, 0xbf763a35, v119
	v_add_f32_e32 v51, v65, v51
	v_add_f32_e32 v50, v70, v50
	v_add_f32_e32 v182, v211, v182
	v_fmamk_f32 v56, v113, 0x3f06c442, v116
	v_mul_f32_e32 v69, 0xbf7ba420, v127
	v_add_f32_e32 v57, v58, v57
	v_fmamk_f32 v58, v108, 0xbe8c1d8e, v68
	v_mul_f32_e32 v65, 0xbf4c4adb, v121
	v_add_f32_e32 v51, v67, v51
	v_add_f32_e32 v50, v64, v50
	;; [unrolled: 1-line block ×3, first 2 shown]
	v_fmamk_f32 v59, v115, 0x3e3c28d5, v69
	v_add_f32_e32 v57, v58, v57
	v_fmamk_f32 v58, v110, 0xbf1a4643, v65
	v_add_f32_e32 v53, v53, v51
	v_add_f32_e32 v50, v66, v50
	v_mul_f32_e32 v64, 0xbf06c442, v122
	v_add_f32_e32 v51, v59, v56
	v_add_f32_e32 v56, v58, v57
	;; [unrolled: 1-line block ×4, first 2 shown]
	v_fmac_f32_e32 v131, 0xbe3c28d5, v102
	v_fmamk_f32 v52, v112, 0xbf59a7d5, v64
	v_mul_f32_e32 v66, 0xbe3c28d5, v124
	v_add_f32_e32 v53, v73, v53
	v_add_f32_e32 v50, v54, v50
	;; [unrolled: 1-line block ×3, first 2 shown]
	v_fmac_f32_e32 v132, 0x3eb8f4ab, v103
	v_add_f32_e32 v52, v52, v56
	v_fmamk_f32 v55, v114, 0xbf7ba420, v66
	v_add_f32_e32 v53, v75, v53
	v_add_f32_e32 v56, v72, v50
	;; [unrolled: 1-line block ×3, first 2 shown]
	v_fmac_f32_e32 v134, 0xbf06c442, v105
	v_add_f32_e32 v50, v55, v52
	v_fma_f32 v52, 0xbf7ba420, v100, -v133
	v_add_f32_e32 v1, v1, v53
	v_add_f32_e32 v53, v74, v56
	v_add_f32_e32 v54, v134, v54
	v_fmac_f32_e32 v136, 0x3f2c7751, v107
	v_add_f32_e32 v52, v48, v52
	v_fma_f32 v55, 0x3f6eb680, v101, -v135
	v_add_f32_e32 v0, v0, v53
	v_fmac_f32_e32 v158, 0xbf06c442, v102
	v_add_f32_e32 v53, v136, v54
	v_fma_f32 v54, 0xbf59a7d5, v104, -v138
	v_add_f32_e32 v52, v55, v52
	v_fmac_f32_e32 v159, 0x3f65296c, v103
	v_add_f32_e32 v55, v49, v158
	v_fmac_f32_e32 v161, 0xbf7ee86f, v105
	v_fma_f32 v56, 0xbf59a7d5, v100, -v160
	v_add_f32_e32 v52, v54, v52
	v_fma_f32 v54, 0x3f3d2fb0, v106, -v142
	v_add_f32_e32 v55, v159, v55
	v_fmac_f32_e32 v163, 0x3f4c4adb, v107
	v_add_f32_e32 v56, v48, v56
	v_fma_f32 v57, 0x3ee437d1, v101, -v162
	v_add_f32_e32 v52, v54, v52
	v_fma_f32 v54, 0xbf1a4643, v108, -v141
	v_add_f32_e32 v55, v161, v55
	v_fmac_f32_e32 v149, 0xbeb8f4ab, v109
	v_add_f32_e32 v56, v57, v56
	v_fma_f32 v57, 0x3dbcf732, v104, -v164
	v_add_f32_e32 v52, v54, v52
	v_fma_f32 v54, 0x3ee437d1, v110, -v145
	v_add_f32_e32 v55, v163, v55
	v_fmac_f32_e32 v173, 0xbf4c4adb, v102
	v_fmac_f32_e32 v150, 0xbe3c28d5, v111
	;; [unrolled: 1-line block ×3, first 2 shown]
	v_add_f32_e32 v52, v54, v52
	v_fma_f32 v54, 0xbe8c1d8e, v112, -v130
	v_fmac_f32_e32 v151, 0x3f2c7751, v113
	v_fmac_f32_e32 v193, 0xbeb8f4ab, v105
	;; [unrolled: 1-line block ×3, first 2 shown]
	v_fma_f32 v58, 0xbf7ba420, v110, -v155
	v_add_f32_e32 v52, v54, v52
	v_fma_f32 v54, 0x3dbcf732, v114, -v140
	v_fmac_f32_e32 v179, 0xbf06c442, v107
	v_fmac_f32_e32 v180, 0x3f7ee86f, v109
	v_fma_f32 v59, 0xbe8c1d8e, v101, -v172
	v_fmac_f32_e32 v168, 0xbf2c7751, v111
	v_add_f32_e32 v52, v54, v52
	v_add_f32_e32 v54, v149, v55
	;; [unrolled: 1-line block ×3, first 2 shown]
	v_fma_f32 v56, 0xbf1a4643, v106, -v153
	v_add_f32_e32 v57, v49, v173
	v_fma_f32 v67, 0x3f6eb680, v104, -v176
	v_add_f32_e32 v54, v150, v54
	v_fmac_f32_e32 v169, 0xbe3c28d5, v113
	v_add_f32_e32 v55, v56, v55
	v_fma_f32 v56, 0x3f6eb680, v108, -v154
	v_add_f32_e32 v57, v174, v57
	v_add_f32_e32 v54, v151, v54
	v_fmac_f32_e32 v170, 0x3f65296c, v115
	v_fma_f32 v70, 0xbf59a7d5, v101, -v196
	v_add_f32_e32 v56, v56, v55
	v_add_f32_e32 v57, v193, v57
	;; [unrolled: 1-line block ×3, first 2 shown]
	v_fma_f32 v54, 0xbf1a4643, v100, -v171
	v_fmac_f32_e32 v202, 0xbf2c7751, v102
	v_add_f32_e32 v56, v58, v56
	v_fma_f32 v58, 0x3f3d2fb0, v112, -v146
	v_add_f32_e32 v57, v179, v57
	v_add_f32_e32 v54, v48, v54
	v_mul_f32_e32 v216, 0x3dbcf732, v112
	v_add_f32_e32 v71, v49, v202
	v_add_f32_e32 v56, v58, v56
	v_fma_f32 v58, 0xbe8c1d8e, v114, -v148
	v_add_f32_e32 v57, v180, v57
	v_add_f32_e32 v59, v59, v54
	v_fmac_f32_e32 v199, 0xbf7ee86f, v103
	v_add_f32_e32 v201, v216, v201
	v_add_f32_e32 v54, v58, v56
	;; [unrolled: 1-line block ×4, first 2 shown]
	v_fma_f32 v58, 0xbf59a7d5, v106, -v166
	v_fma_f32 v67, 0x3dbcf732, v108, -v167
	;; [unrolled: 1-line block ×3, first 2 shown]
	v_add_f32_e32 v56, v169, v56
	v_add_f32_e32 v93, v201, v93
	;; [unrolled: 1-line block ×3, first 2 shown]
	v_mul_f32_e32 v201, 0xbf2c7751, v95
	v_fmac_f32_e32 v191, 0xbf763a35, v102
	v_add_f32_e32 v57, v170, v56
	v_fma_f32 v56, 0xbe8c1d8e, v100, -v194
	v_add_f32_e32 v58, v67, v58
	v_fma_f32 v67, 0x3f3d2fb0, v110, -v156
	v_add_f32_e32 v93, v198, v93
	v_fmamk_f32 v198, v100, 0x3f3d2fb0, v201
	v_add_f32_e32 v56, v48, v56
	v_fmac_f32_e32 v209, 0xbeb8f4ab, v102
	v_add_f32_e32 v58, v67, v58
	v_fma_f32 v67, 0xbf7ba420, v112, -v157
	v_fma_f32 v61, 0x3f6eb680, v100, -v61
	v_add_f32_e32 v56, v70, v56
	v_fma_f32 v70, 0x3f3d2fb0, v104, -v184
	v_add_f32_e32 v198, v48, v198
	v_add_f32_e32 v58, v67, v58
	v_fma_f32 v67, 0x3ee437d1, v106, -v185
	v_fmamk_f32 v207, v101, 0x3dbcf732, v205
	v_add_f32_e32 v56, v70, v56
	v_add_f32_e32 v70, v199, v71
	v_fma_f32 v71, 0x3ee437d1, v114, -v147
	v_mul_f32_e32 v208, 0xbf4c4adb, v117
	v_add_f32_e32 v59, v49, v191
	v_add_f32_e32 v56, v67, v56
	v_fma_f32 v67, 0xbf7ba420, v108, -v186
	v_fmac_f32_e32 v192, 0x3f06c442, v103
	v_add_f32_e32 v49, v49, v209
	v_fmac_f32_e32 v120, 0xbf2c7751, v103
	v_add_f32_e32 v198, v207, v198
	v_add_f32_e32 v67, v67, v56
	;; [unrolled: 1-line block ×3, first 2 shown]
	v_fma_f32 v71, 0x3f3d2fb0, v100, -v201
	v_fmamk_f32 v207, v104, 0xbf1a4643, v208
	v_mul_f32_e32 v210, 0xbe3c28d5, v118
	v_add_f32_e32 v58, v72, v67
	v_fma_f32 v67, 0x3f6eb680, v112, -v189
	v_add_f32_e32 v59, v192, v59
	v_fmac_f32_e32 v195, 0x3f2c7751, v105
	v_fmac_f32_e32 v203, 0xbf4c4adb, v105
	v_add_f32_e32 v49, v120, v49
	v_add_f32_e32 v58, v67, v58
	v_fma_f32 v67, 0xbf1a4643, v114, -v190
	v_fmac_f32_e32 v123, 0xbf65296c, v105
	v_add_f32_e32 v198, v207, v198
	v_fmamk_f32 v206, v106, 0xbf7ba420, v210
	v_mul_f32_e32 v207, 0x3f06c442, v119
	v_add_f32_e32 v58, v67, v58
	v_add_f32_e32 v67, v48, v71
	v_fma_f32 v71, 0x3dbcf732, v101, -v205
	v_add_f32_e32 v48, v48, v61
	v_fma_f32 v61, 0x3f3d2fb0, v101, -v63
	v_add_f32_e32 v59, v195, v59
	v_fmac_f32_e32 v181, 0xbf65296c, v107
	v_add_f32_e32 v67, v71, v67
	v_fma_f32 v71, 0xbf1a4643, v104, -v208
	v_add_f32_e32 v48, v61, v48
	v_fma_f32 v61, 0x3ee437d1, v104, -v62
	v_add_f32_e32 v70, v203, v70
	v_fmac_f32_e32 v197, 0xbe3c28d5, v107
	v_add_f32_e32 v63, v71, v67
	v_fma_f32 v67, 0xbf7ba420, v106, -v210
	v_add_f32_e32 v49, v123, v49
	v_fmac_f32_e32 v125, 0xbf7ee86f, v107
	v_add_f32_e32 v48, v61, v48
	v_fma_f32 v60, 0x3dbcf732, v106, -v60
	v_add_f32_e32 v198, v206, v198
	v_fmamk_f32 v206, v108, 0xbf59a7d5, v207
	v_mul_f32_e32 v212, 0x3f763a35, v121
	v_fmac_f32_e32 v139, 0xbf4c4adb, v109
	v_add_f32_e32 v59, v181, v59
	v_fmac_f32_e32 v178, 0xbe3c28d5, v109
	v_add_f32_e32 v70, v197, v70
	;; [unrolled: 2-line block ×3, first 2 shown]
	v_fma_f32 v63, 0xbf59a7d5, v108, -v207
	v_add_f32_e32 v49, v125, v49
	v_fmac_f32_e32 v128, 0xbf763a35, v109
	v_add_f32_e32 v48, v60, v48
	v_fma_f32 v60, 0xbe8c1d8e, v108, -v68
	v_add_f32_e32 v198, v206, v198
	v_fmamk_f32 v206, v110, 0xbe8c1d8e, v212
	v_mul_f32_e32 v213, 0x3f65296c, v122
	v_add_f32_e32 v53, v139, v53
	v_fmac_f32_e32 v137, 0x3f65296c, v111
	v_add_f32_e32 v59, v178, v59
	v_fmac_f32_e32 v175, 0x3f7ee86f, v111
	;; [unrolled: 2-line block ×3, first 2 shown]
	v_add_f32_e32 v61, v63, v62
	v_fma_f32 v62, 0xbe8c1d8e, v110, -v212
	v_add_f32_e32 v49, v128, v49
	v_fmac_f32_e32 v129, 0xbf4c4adb, v111
	v_add_f32_e32 v48, v60, v48
	v_fma_f32 v60, 0xbf1a4643, v110, -v65
	v_add_f32_e32 v198, v206, v198
	v_fmamk_f32 v206, v112, 0x3ee437d1, v213
	v_mul_f32_e32 v214, 0x3eb8f4ab, v124
	v_add_f32_e32 v53, v137, v53
	v_fmac_f32_e32 v143, 0xbf763a35, v113
	v_add_f32_e32 v1, v80, v1
	v_add_f32_e32 v0, v79, v0
	;; [unrolled: 1-line block ×3, first 2 shown]
	v_fmac_f32_e32 v188, 0xbeb8f4ab, v113
	v_add_f32_e32 v70, v183, v70
	v_fmac_f32_e32 v204, 0x3f65296c, v113
	v_add_f32_e32 v61, v62, v61
	v_fma_f32 v62, 0x3ee437d1, v112, -v213
	v_add_f32_e32 v49, v129, v49
	v_fmac_f32_e32 v116, 0xbf06c442, v113
	v_add_f32_e32 v48, v60, v48
	v_fma_f32 v60, 0xbf59a7d5, v112, -v64
	v_mul_lo_u16 v63, v98, 17
	v_mov_b32_e32 v64, 3
	v_add_f32_e32 v198, v206, v198
	v_fmamk_f32 v206, v114, 0x3f6eb680, v214
	v_add_f32_e32 v53, v143, v53
	v_fmac_f32_e32 v144, 0x3f7ee86f, v115
	v_add_f32_e32 v1, v78, v1
	v_add_f32_e32 v0, v77, v0
	;; [unrolled: 1-line block ×3, first 2 shown]
	v_fmac_f32_e32 v177, 0xbf4c4adb, v115
	v_add_f32_e32 v70, v204, v70
	v_fmac_f32_e32 v165, 0x3eb8f4ab, v115
	v_add_f32_e32 v61, v62, v61
	v_fma_f32 v62, 0x3f6eb680, v114, -v214
	v_add_f32_e32 v65, v116, v49
	v_fmac_f32_e32 v69, 0xbe3c28d5, v115
	v_add_f32_e32 v60, v60, v48
	v_fma_f32 v66, 0xbf7ba420, v114, -v66
	v_lshlrev_b32_sdwa v63, v64, v63 dst_sel:DWORD dst_unused:UNUSED_PAD src0_sel:DWORD src1_sel:WORD_0
	v_add_f32_e32 v95, v206, v198
	v_add_f32_e32 v53, v144, v53
	;; [unrolled: 1-line block ×7, first 2 shown]
	ds_write2_b64 v63, v[0:1], v[50:51] offset1:1
	ds_write2_b64 v63, v[95:96], v[93:94] offset0:2 offset1:3
	ds_write2_b64 v63, v[91:92], v[89:90] offset0:4 offset1:5
	;; [unrolled: 1-line block ×7, first 2 shown]
	ds_write_b64 v63, v[60:61] offset:128
.LBB0_17:
	s_or_b32 exec_lo, exec_lo, s1
	s_waitcnt lgkmcnt(0)
	s_barrier
	buffer_gl0_inv
	ds_read2_b64 v[49:52], v97 offset1:51
	ds_read2_b64 v[53:56], v97 offset0:102 offset1:153
	ds_read2_b64 v[57:60], v97 offset0:204 offset1:255
	v_add_nc_u32_e32 v48, 0x800, v97
	v_add_nc_u32_e32 v0, 0xc00, v97
	ds_read_b64 v[73:74], v97 offset:4896
	ds_read2_b64 v[61:64], v48 offset0:50 offset1:101
	ds_read2_b64 v[65:68], v48 offset0:152 offset1:203
	;; [unrolled: 1-line block ×3, first 2 shown]
	s_waitcnt lgkmcnt(0)
	s_barrier
	buffer_gl0_inv
	v_mul_f32_e32 v75, v25, v52
	v_mul_f32_e32 v0, v25, v51
	;; [unrolled: 1-line block ×7, first 2 shown]
	v_fmac_f32_e32 v75, v24, v51
	v_fma_f32 v24, v24, v52, -v0
	v_fmac_f32_e32 v25, v26, v53
	v_fma_f32 v26, v26, v54, -v1
	v_mul_f32_e32 v1, v13, v59
	v_fmac_f32_e32 v27, v20, v55
	v_fma_f32 v51, v20, v56, -v77
	v_fmac_f32_e32 v21, v12, v59
	v_mul_f32_e32 v0, v15, v62
	v_fma_f32 v20, v12, v60, -v1
	v_mul_f32_e32 v12, v15, v61
	v_add_f32_e32 v13, v49, v75
	v_add_f32_e32 v15, v50, v24
	v_mul_f32_e32 v78, v23, v58
	v_mul_f32_e32 v23, v23, v57
	v_fmac_f32_e32 v0, v14, v61
	v_fma_f32 v12, v14, v62, -v12
	v_add_f32_e32 v13, v13, v25
	v_add_f32_e32 v14, v15, v26
	v_fmac_f32_e32 v78, v22, v57
	v_fma_f32 v22, v22, v58, -v23
	v_mul_f32_e32 v1, v5, v64
	v_mul_f32_e32 v5, v5, v63
	v_add_f32_e32 v23, v13, v27
	v_add_f32_e32 v14, v14, v51
	v_mul_f32_e32 v15, v7, v66
	v_fmac_f32_e32 v1, v4, v63
	v_fma_f32 v13, v4, v64, -v5
	v_mul_f32_e32 v4, v7, v65
	v_add_f32_e32 v5, v23, v78
	v_add_f32_e32 v7, v14, v22
	v_fmac_f32_e32 v15, v6, v65
	v_mul_f32_e32 v14, v17, v68
	v_fma_f32 v6, v6, v66, -v4
	v_mul_f32_e32 v4, v17, v67
	v_add_f32_e32 v5, v5, v21
	v_add_f32_e32 v7, v7, v20
	v_fmac_f32_e32 v14, v16, v67
	v_mul_f32_e32 v17, v19, v70
	v_fma_f32 v16, v16, v68, -v4
	v_add_f32_e32 v4, v5, v0
	v_add_f32_e32 v5, v7, v12
	v_mul_f32_e32 v7, v19, v69
	v_fmac_f32_e32 v17, v18, v69
	v_mul_f32_e32 v19, v9, v72
	v_add_f32_e32 v4, v4, v1
	v_add_f32_e32 v5, v5, v13
	v_fma_f32 v7, v18, v70, -v7
	v_mul_f32_e32 v18, v11, v73
	v_mul_f32_e32 v11, v11, v74
	v_add_f32_e32 v4, v4, v15
	v_add_f32_e32 v5, v5, v6
	v_mul_f32_e32 v9, v9, v71
	v_fma_f32 v18, v10, v74, -v18
	v_fmac_f32_e32 v11, v10, v73
	v_add_f32_e32 v4, v4, v14
	v_fmac_f32_e32 v19, v8, v71
	v_add_f32_e32 v5, v5, v16
	v_sub_f32_e32 v10, v24, v18
	v_fma_f32 v8, v8, v72, -v9
	v_add_f32_e32 v4, v4, v17
	v_add_f32_e32 v9, v75, v11
	;; [unrolled: 1-line block ×3, first 2 shown]
	v_mul_f32_e32 v23, 0xbeedf032, v10
	v_add_f32_e32 v24, v24, v18
	v_add_f32_e32 v4, v4, v19
	v_sub_f32_e32 v71, v26, v8
	v_add_f32_e32 v5, v5, v8
	v_fmamk_f32 v53, v9, 0x3f62ad3f, v23
	v_sub_f32_e32 v52, v75, v11
	v_mul_f32_e32 v54, 0x3f62ad3f, v24
	v_add_f32_e32 v4, v4, v11
	v_mul_f32_e32 v55, 0x3f116cb1, v24
	v_add_f32_e32 v11, v49, v53
	v_mul_f32_e32 v53, 0xbf52af12, v10
	v_mul_f32_e32 v58, 0xbf7e222b, v10
	;; [unrolled: 1-line block ×9, first 2 shown]
	v_add_f32_e32 v73, v25, v19
	v_mul_f32_e32 v74, 0xbf52af12, v71
	v_add_f32_e32 v8, v26, v8
	v_add_f32_e32 v5, v5, v18
	v_fmamk_f32 v18, v52, 0x3eedf032, v54
	v_fma_f32 v23, 0x3f62ad3f, v9, -v23
	v_fmac_f32_e32 v54, 0xbeedf032, v52
	v_fmamk_f32 v56, v9, 0x3f116cb1, v53
	v_fmamk_f32 v57, v52, 0x3f52af12, v55
	v_fma_f32 v53, 0x3f116cb1, v9, -v53
	v_fmac_f32_e32 v55, 0xbf52af12, v52
	v_fmamk_f32 v59, v9, 0x3df6dbef, v58
	;; [unrolled: 4-line block ×5, first 2 shown]
	v_fmamk_f32 v72, v52, 0x3e750f2a, v24
	v_fma_f32 v9, 0xbf788fa5, v9, -v10
	v_fmac_f32_e32 v24, 0xbe750f2a, v52
	v_sub_f32_e32 v10, v25, v19
	v_fmamk_f32 v19, v73, 0x3f116cb1, v74
	v_mul_f32_e32 v25, 0x3f116cb1, v8
	v_add_f32_e32 v18, v50, v18
	v_add_f32_e32 v23, v49, v23
	;; [unrolled: 1-line block ×24, first 2 shown]
	v_fmamk_f32 v19, v10, 0x3f52af12, v25
	v_mul_f32_e32 v49, 0xbf6f5d39, v71
	v_fma_f32 v50, 0x3f116cb1, v73, -v74
	v_fmac_f32_e32 v25, 0xbf52af12, v10
	v_mul_f32_e32 v52, 0xbeb58ec6, v8
	v_add_f32_e32 v18, v19, v18
	v_fmamk_f32 v19, v73, 0xbeb58ec6, v49
	v_add_f32_e32 v23, v50, v23
	v_add_f32_e32 v25, v25, v54
	v_fmamk_f32 v50, v10, 0x3f6f5d39, v52
	v_mul_f32_e32 v54, 0xbe750f2a, v71
	v_fma_f32 v49, 0xbeb58ec6, v73, -v49
	v_add_f32_e32 v19, v19, v56
	v_fmac_f32_e32 v52, 0xbf6f5d39, v10
	v_add_f32_e32 v50, v50, v57
	v_fmamk_f32 v56, v73, 0xbf788fa5, v54
	v_mul_f32_e32 v57, 0xbf788fa5, v8
	v_add_f32_e32 v49, v49, v53
	v_mul_f32_e32 v53, 0x3f29c268, v71
	v_add_f32_e32 v52, v52, v55
	v_add_f32_e32 v55, v56, v59
	v_fmamk_f32 v56, v10, 0x3e750f2a, v57
	v_fma_f32 v54, 0xbf788fa5, v73, -v54
	v_fmac_f32_e32 v57, 0xbe750f2a, v10
	v_fmamk_f32 v59, v73, 0xbf3f9e67, v53
	v_mul_f32_e32 v72, 0xbf3f9e67, v8
	v_add_f32_e32 v56, v56, v62
	v_add_f32_e32 v54, v54, v58
	;; [unrolled: 1-line block ×4, first 2 shown]
	v_fmamk_f32 v59, v10, 0xbf29c268, v72
	v_mul_f32_e32 v60, 0x3f7e222b, v71
	v_fma_f32 v53, 0xbf3f9e67, v73, -v53
	v_mul_f32_e32 v62, 0x3df6dbef, v8
	v_mul_f32_e32 v8, 0x3f62ad3f, v8
	v_add_f32_e32 v59, v59, v65
	v_fmamk_f32 v63, v73, 0x3df6dbef, v60
	v_mul_f32_e32 v65, 0x3eedf032, v71
	v_fma_f32 v60, 0x3df6dbef, v73, -v60
	v_add_f32_e32 v53, v53, v61
	v_fmamk_f32 v61, v10, 0xbf7e222b, v62
	v_add_f32_e32 v63, v63, v68
	v_fmac_f32_e32 v62, 0x3f7e222b, v10
	v_fmamk_f32 v68, v73, 0x3f62ad3f, v65
	v_add_f32_e32 v60, v60, v66
	v_sub_f32_e32 v66, v51, v7
	v_add_f32_e32 v61, v61, v69
	v_add_f32_e32 v62, v62, v67
	;; [unrolled: 1-line block ×4, first 2 shown]
	v_mul_f32_e32 v70, 0xbf7e222b, v66
	v_add_f32_e32 v7, v51, v7
	v_fmac_f32_e32 v72, 0x3f29c268, v10
	v_fmamk_f32 v68, v10, 0xbeedf032, v8
	v_fma_f32 v51, 0x3f62ad3f, v73, -v65
	v_fmac_f32_e32 v8, 0x3eedf032, v10
	v_sub_f32_e32 v10, v27, v17
	v_fmamk_f32 v17, v69, 0x3df6dbef, v70
	v_mul_f32_e32 v27, 0x3df6dbef, v7
	v_add_f32_e32 v9, v51, v9
	v_add_f32_e32 v8, v8, v24
	v_mul_f32_e32 v24, 0xbe750f2a, v66
	v_add_f32_e32 v11, v17, v11
	v_fmamk_f32 v17, v10, 0x3f7e222b, v27
	v_fma_f32 v51, 0x3df6dbef, v69, -v70
	v_fmac_f32_e32 v27, 0xbf7e222b, v10
	v_mul_f32_e32 v65, 0xbf788fa5, v7
	v_add_f32_e32 v26, v68, v26
	v_add_f32_e32 v17, v17, v18
	v_fmamk_f32 v18, v69, 0xbf788fa5, v24
	v_add_f32_e32 v23, v51, v23
	v_add_f32_e32 v25, v27, v25
	v_fmamk_f32 v27, v10, 0x3e750f2a, v65
	v_mul_f32_e32 v51, 0x3f6f5d39, v66
	v_add_f32_e32 v18, v18, v19
	v_fma_f32 v19, 0xbf788fa5, v69, -v24
	v_fmac_f32_e32 v65, 0xbe750f2a, v10
	v_add_f32_e32 v24, v27, v50
	v_fmamk_f32 v27, v69, 0xbeb58ec6, v51
	v_mul_f32_e32 v50, 0xbeb58ec6, v7
	v_mul_f32_e32 v68, 0x3f62ad3f, v7
	v_add_f32_e32 v19, v19, v49
	v_add_f32_e32 v49, v65, v52
	;; [unrolled: 1-line block ×3, first 2 shown]
	v_fmamk_f32 v55, v10, 0xbf6f5d39, v50
	v_fmac_f32_e32 v50, 0x3f6f5d39, v10
	v_mul_f32_e32 v52, 0x3eedf032, v66
	v_fma_f32 v51, 0xbeb58ec6, v69, -v51
	v_add_f32_e32 v64, v72, v64
	v_add_f32_e32 v55, v55, v56
	;; [unrolled: 1-line block ×3, first 2 shown]
	v_fmamk_f32 v56, v10, 0xbeedf032, v68
	v_mul_f32_e32 v57, 0xbf52af12, v66
	v_fmamk_f32 v65, v69, 0x3f62ad3f, v52
	v_add_f32_e32 v51, v51, v54
	v_fma_f32 v52, 0x3f62ad3f, v69, -v52
	v_add_f32_e32 v56, v56, v59
	v_fmamk_f32 v59, v69, 0x3f116cb1, v57
	v_fma_f32 v57, 0x3f116cb1, v69, -v57
	v_add_f32_e32 v54, v65, v58
	v_mul_f32_e32 v58, 0x3f116cb1, v7
	v_add_f32_e32 v52, v52, v53
	v_mul_f32_e32 v65, 0xbf29c268, v66
	v_add_f32_e32 v57, v57, v60
	v_sub_f32_e32 v60, v22, v16
	v_fmamk_f32 v53, v10, 0x3f52af12, v58
	v_add_f32_e32 v59, v59, v63
	v_fmac_f32_e32 v58, 0xbf52af12, v10
	v_mul_f32_e32 v7, 0xbf3f9e67, v7
	v_add_f32_e32 v63, v78, v14
	v_mul_f32_e32 v66, 0xbf6f5d39, v60
	v_add_f32_e32 v16, v22, v16
	v_fmac_f32_e32 v68, 0x3eedf032, v10
	v_add_f32_e32 v53, v53, v61
	v_fmamk_f32 v61, v69, 0xbf3f9e67, v65
	v_add_f32_e32 v58, v58, v62
	v_fmamk_f32 v62, v10, 0x3f29c268, v7
	v_fma_f32 v22, 0xbf3f9e67, v69, -v65
	v_fmac_f32_e32 v7, 0xbf29c268, v10
	v_sub_f32_e32 v10, v78, v14
	v_fmamk_f32 v14, v63, 0xbeb58ec6, v66
	v_mul_f32_e32 v65, 0xbeb58ec6, v16
	v_add_f32_e32 v26, v62, v26
	v_add_f32_e32 v9, v22, v9
	;; [unrolled: 1-line block ×4, first 2 shown]
	v_fmamk_f32 v11, v10, 0x3f6f5d39, v65
	v_mul_f32_e32 v14, 0x3f29c268, v60
	v_fma_f32 v22, 0xbeb58ec6, v63, -v66
	v_fmac_f32_e32 v65, 0xbf6f5d39, v10
	v_mul_f32_e32 v62, 0xbf3f9e67, v16
	v_add_f32_e32 v11, v11, v17
	v_fmamk_f32 v17, v63, 0xbf3f9e67, v14
	v_add_f32_e32 v22, v22, v23
	v_add_f32_e32 v23, v65, v25
	v_fmamk_f32 v25, v10, 0xbf29c268, v62
	v_mul_f32_e32 v65, 0x3eedf032, v60
	v_fma_f32 v14, 0xbf3f9e67, v63, -v14
	v_fmac_f32_e32 v62, 0x3f29c268, v10
	v_add_f32_e32 v17, v17, v18
	v_add_f32_e32 v18, v25, v24
	v_fmamk_f32 v24, v63, 0x3f62ad3f, v65
	v_mul_f32_e32 v25, 0x3f62ad3f, v16
	v_add_f32_e32 v14, v14, v19
	v_add_f32_e32 v19, v62, v49
	v_mul_f32_e32 v49, 0xbf7e222b, v60
	v_add_f32_e32 v24, v24, v27
	v_fmamk_f32 v27, v10, 0xbeedf032, v25
	v_fma_f32 v62, 0x3f62ad3f, v63, -v65
	v_fmac_f32_e32 v25, 0x3eedf032, v10
	v_fmamk_f32 v65, v63, 0x3df6dbef, v49
	v_mul_f32_e32 v66, 0x3df6dbef, v16
	v_add_f32_e32 v27, v27, v55
	v_add_f32_e32 v51, v62, v51
	;; [unrolled: 1-line block ×4, first 2 shown]
	v_fmamk_f32 v54, v10, 0x3f7e222b, v66
	v_mul_f32_e32 v55, 0x3e750f2a, v60
	v_fma_f32 v49, 0x3df6dbef, v63, -v49
	v_mul_f32_e32 v62, 0xbf788fa5, v16
	v_mul_f32_e32 v60, 0x3f52af12, v60
	v_add_f32_e32 v54, v54, v56
	v_fmamk_f32 v56, v63, 0xbf788fa5, v55
	v_add_f32_e32 v49, v49, v52
	v_fmamk_f32 v52, v10, 0xbe750f2a, v62
	v_fma_f32 v55, 0xbf788fa5, v63, -v55
	v_add_f32_e32 v61, v61, v67
	v_fmac_f32_e32 v62, 0x3e750f2a, v10
	v_mul_f32_e32 v16, 0x3f116cb1, v16
	v_add_f32_e32 v52, v52, v53
	v_fmamk_f32 v53, v63, 0x3f116cb1, v60
	v_add_f32_e32 v55, v55, v57
	v_sub_f32_e32 v57, v20, v6
	v_add_f32_e32 v58, v62, v58
	v_add_f32_e32 v6, v20, v6
	;; [unrolled: 1-line block ×4, first 2 shown]
	v_mul_f32_e32 v62, 0xbf29c268, v57
	v_fmac_f32_e32 v66, 0xbf7e222b, v10
	v_add_f32_e32 v56, v56, v59
	v_fmamk_f32 v59, v10, 0xbf52af12, v16
	v_fma_f32 v20, 0x3f116cb1, v63, -v60
	v_fmac_f32_e32 v16, 0x3f52af12, v10
	v_sub_f32_e32 v10, v21, v15
	v_fmamk_f32 v15, v61, 0xbf3f9e67, v62
	v_mul_f32_e32 v21, 0xbf3f9e67, v6
	v_add_f32_e32 v26, v59, v26
	v_add_f32_e32 v9, v20, v9
	;; [unrolled: 1-line block ×4, first 2 shown]
	v_fmamk_f32 v15, v10, 0x3f29c268, v21
	v_mul_f32_e32 v16, 0x3f7e222b, v57
	v_fma_f32 v20, 0xbf3f9e67, v61, -v62
	v_fmac_f32_e32 v21, 0xbf29c268, v10
	v_mul_f32_e32 v59, 0x3df6dbef, v6
	v_add_f32_e32 v11, v15, v11
	v_fmamk_f32 v15, v61, 0x3df6dbef, v16
	v_add_f32_e32 v20, v20, v22
	v_add_f32_e32 v21, v21, v23
	v_fmamk_f32 v22, v10, 0xbf7e222b, v59
	v_mul_f32_e32 v23, 0xbf52af12, v57
	v_fma_f32 v16, 0x3df6dbef, v61, -v16
	v_fmac_f32_e32 v59, 0x3f7e222b, v10
	v_add_f32_e32 v15, v15, v17
	v_add_f32_e32 v17, v22, v18
	v_fmamk_f32 v18, v61, 0x3f116cb1, v23
	v_mul_f32_e32 v22, 0x3f116cb1, v6
	v_add_f32_e32 v14, v16, v14
	v_add_f32_e32 v16, v59, v19
	v_mul_f32_e32 v19, 0x3e750f2a, v57
	v_add_f32_e32 v18, v18, v24
	v_fmamk_f32 v24, v10, 0x3f52af12, v22
	v_fmac_f32_e32 v22, 0xbf52af12, v10
	v_mul_f32_e32 v60, 0xbf788fa5, v6
	v_fmamk_f32 v59, v61, 0xbf788fa5, v19
	v_fma_f32 v23, 0x3f116cb1, v61, -v23
	v_add_f32_e32 v24, v24, v27
	v_add_f32_e32 v22, v22, v25
	v_fmamk_f32 v27, v10, 0xbe750f2a, v60
	v_add_f32_e32 v25, v59, v50
	v_mul_f32_e32 v50, 0x3eedf032, v57
	v_add_f32_e32 v64, v68, v64
	v_add_f32_e32 v23, v23, v51
	v_fma_f32 v19, 0xbf788fa5, v61, -v19
	v_mul_f32_e32 v51, 0x3f62ad3f, v6
	v_add_f32_e32 v27, v27, v54
	v_fmamk_f32 v54, v61, 0x3f62ad3f, v50
	v_fma_f32 v50, 0x3f62ad3f, v61, -v50
	v_add_f32_e32 v64, v66, v64
	v_fmac_f32_e32 v60, 0x3e750f2a, v10
	v_add_f32_e32 v19, v19, v49
	v_fmamk_f32 v49, v10, 0xbeedf032, v51
	v_mul_f32_e32 v57, 0xbf6f5d39, v57
	v_fmac_f32_e32 v51, 0x3eedf032, v10
	v_add_f32_e32 v50, v50, v55
	v_sub_f32_e32 v55, v12, v13
	v_add_f32_e32 v59, v60, v64
	v_add_f32_e32 v54, v54, v56
	;; [unrolled: 1-line block ×3, first 2 shown]
	v_fmamk_f32 v52, v61, 0xbeb58ec6, v57
	v_mul_f32_e32 v6, 0xbeb58ec6, v6
	v_add_f32_e32 v51, v51, v58
	v_add_f32_e32 v56, v0, v1
	v_mul_f32_e32 v58, 0xbe750f2a, v55
	v_add_f32_e32 v60, v12, v13
	v_add_f32_e32 v52, v52, v53
	v_fmamk_f32 v53, v10, 0x3f6f5d39, v6
	v_fma_f32 v12, 0xbeb58ec6, v61, -v57
	v_fmac_f32_e32 v6, 0xbf6f5d39, v10
	v_sub_f32_e32 v57, v0, v1
	v_fmamk_f32 v0, v56, 0xbf788fa5, v58
	v_mul_f32_e32 v1, 0xbf788fa5, v60
	v_add_f32_e32 v26, v53, v26
	v_add_f32_e32 v53, v12, v9
	;; [unrolled: 1-line block ×4, first 2 shown]
	v_fmamk_f32 v0, v57, 0x3e750f2a, v1
	v_mul_f32_e32 v9, 0x3eedf032, v55
	v_mul_f32_e32 v12, 0x3f62ad3f, v60
	v_fma_f32 v8, 0xbf788fa5, v56, -v58
	v_mul_f32_e32 v13, 0xbf29c268, v55
	v_add_f32_e32 v7, v0, v11
	v_fmamk_f32 v10, v56, 0x3f62ad3f, v9
	v_fmamk_f32 v11, v57, 0xbeedf032, v12
	v_fmac_f32_e32 v1, 0xbe750f2a, v57
	v_add_f32_e32 v0, v8, v20
	v_fmac_f32_e32 v12, 0x3eedf032, v57
	v_add_f32_e32 v8, v10, v15
	v_fma_f32 v10, 0x3f62ad3f, v56, -v9
	v_add_f32_e32 v9, v11, v17
	v_fmamk_f32 v15, v56, 0xbf3f9e67, v13
	v_mul_f32_e32 v17, 0xbf3f9e67, v60
	v_add_f32_e32 v1, v1, v21
	v_add_f32_e32 v10, v10, v14
	;; [unrolled: 1-line block ×3, first 2 shown]
	v_mul_f32_e32 v20, 0x3f52af12, v55
	v_add_f32_e32 v12, v15, v18
	v_fmamk_f32 v14, v57, 0x3f29c268, v17
	v_fma_f32 v15, 0xbf3f9e67, v56, -v13
	v_fmac_f32_e32 v17, 0xbf29c268, v57
	v_mul_f32_e32 v21, 0x3f116cb1, v60
	v_fma_f32 v18, 0x3f116cb1, v56, -v20
	v_add_f32_e32 v13, v14, v24
	v_add_f32_e32 v14, v15, v23
	;; [unrolled: 1-line block ×3, first 2 shown]
	v_fmamk_f32 v17, v57, 0xbf52af12, v21
	v_mul_f32_e32 v22, 0xbf6f5d39, v55
	v_fmac_f32_e32 v21, 0x3f52af12, v57
	v_mul_f32_e32 v23, 0xbeb58ec6, v60
	v_fmamk_f32 v16, v56, 0x3f116cb1, v20
	v_add_f32_e32 v17, v17, v27
	v_fmamk_f32 v20, v56, 0xbeb58ec6, v22
	v_add_f32_e32 v18, v18, v19
	v_add_f32_e32 v19, v21, v59
	v_fmamk_f32 v21, v57, 0x3f6f5d39, v23
	v_fma_f32 v22, 0xbeb58ec6, v56, -v22
	v_mul_f32_e32 v24, 0x3f7e222b, v55
	v_mul_f32_e32 v27, 0x3df6dbef, v60
	v_add_f32_e32 v16, v16, v25
	v_add_f32_e32 v21, v21, v49
	;; [unrolled: 1-line block ×3, first 2 shown]
	v_fmamk_f32 v25, v56, 0x3df6dbef, v24
	v_fmamk_f32 v49, v57, 0xbf7e222b, v27
	v_fma_f32 v50, 0x3df6dbef, v56, -v24
	v_fmac_f32_e32 v27, 0x3f7e222b, v57
	v_fmac_f32_e32 v23, 0xbf6f5d39, v57
	v_add_f32_e32 v24, v25, v52
	v_add_f32_e32 v25, v49, v26
	;; [unrolled: 1-line block ×3, first 2 shown]
	v_add_nc_u32_e32 v50, 0x400, v97
	v_add_f32_e32 v20, v20, v54
	v_add_f32_e32 v27, v27, v61
	;; [unrolled: 1-line block ×3, first 2 shown]
	v_add_nc_u32_e32 v49, 0x1000, v97
	ds_write2_b64 v99, v[4:5], v[6:7] offset1:17
	ds_write2_b64 v99, v[8:9], v[12:13] offset0:34 offset1:51
	ds_write2_b64 v99, v[16:17], v[20:21] offset0:68 offset1:85
	;; [unrolled: 1-line block ×5, first 2 shown]
	ds_write_b64 v99, v[0:1] offset:1632
	s_waitcnt lgkmcnt(0)
	s_barrier
	buffer_gl0_inv
	ds_read2_b64 v[4:7], v97 offset1:51
	ds_read2_b64 v[24:27], v50 offset0:93 offset1:144
	ds_read2_b64 v[20:23], v48 offset0:186 offset1:237
	;; [unrolled: 1-line block ×5, first 2 shown]
	s_and_saveexec_b32 s1, s0
	s_cbranch_execz .LBB0_19
; %bb.18:
	v_add_nc_u32_e32 v0, 0x600, v97
	ds_read2_b64 v[0:3], v0 offset0:12 offset1:233
	ds_read_b64 v[81:82], v97 offset:5168
.LBB0_19:
	s_or_b32 exec_lo, exec_lo, s1
	s_waitcnt lgkmcnt(4)
	v_mul_f32_e32 v51, v37, v25
	v_mul_f32_e32 v37, v37, v24
	s_waitcnt lgkmcnt(3)
	v_mul_f32_e32 v52, v39, v21
	v_mul_f32_e32 v39, v39, v20
	v_fmac_f32_e32 v51, v36, v24
	v_fma_f32 v24, v36, v25, -v37
	v_mul_f32_e32 v25, v45, v27
	v_fmac_f32_e32 v52, v38, v20
	v_mul_f32_e32 v20, v45, v26
	v_mul_f32_e32 v36, v47, v23
	v_fma_f32 v21, v38, v21, -v39
	v_fmac_f32_e32 v25, v44, v26
	v_mul_f32_e32 v26, v47, v22
	v_fma_f32 v20, v44, v27, -v20
	s_waitcnt lgkmcnt(1)
	v_mul_f32_e32 v27, v41, v17
	v_fmac_f32_e32 v36, v46, v22
	v_mul_f32_e32 v22, v41, v16
	v_fma_f32 v23, v46, v23, -v26
	s_waitcnt lgkmcnt(0)
	v_mul_f32_e32 v26, v43, v13
	v_fmac_f32_e32 v27, v40, v16
	v_mul_f32_e32 v16, v43, v12
	v_mul_f32_e32 v37, v33, v19
	v_mul_f32_e32 v38, v35, v15
	v_fmac_f32_e32 v26, v42, v12
	v_mul_f32_e32 v12, v33, v18
	v_fma_f32 v33, v42, v13, -v16
	v_mul_f32_e32 v13, v35, v14
	v_fmac_f32_e32 v37, v32, v18
	v_fmac_f32_e32 v38, v34, v14
	v_fma_f32 v32, v32, v19, -v12
	v_add_f32_e32 v12, v51, v52
	v_fma_f32 v34, v34, v15, -v13
	v_add_f32_e32 v13, v24, v21
	;; [unrolled: 2-line block ×3, first 2 shown]
	v_fma_f32 v4, -0.5, v12, v4
	v_sub_f32_e32 v15, v24, v21
	v_add_f32_e32 v16, v5, v24
	v_fma_f32 v5, -0.5, v13, v5
	v_sub_f32_e32 v17, v51, v52
	v_add_f32_e32 v12, v14, v52
	v_fmamk_f32 v14, v15, 0xbf5db3d7, v4
	v_fmac_f32_e32 v4, 0x3f5db3d7, v15
	v_add_f32_e32 v13, v16, v21
	v_add_f32_e32 v16, v25, v36
	v_fmamk_f32 v15, v17, 0x3f5db3d7, v5
	v_fmac_f32_e32 v5, 0xbf5db3d7, v17
	v_add_f32_e32 v17, v20, v23
	v_add_f32_e32 v18, v6, v25
	v_fma_f32 v6, -0.5, v16, v6
	v_sub_f32_e32 v19, v20, v23
	v_add_f32_e32 v20, v7, v20
	v_fmac_f32_e32 v7, -0.5, v17
	v_sub_f32_e32 v21, v25, v36
	v_add_f32_e32 v16, v18, v36
	v_fmamk_f32 v18, v19, 0xbf5db3d7, v6
	v_fmac_f32_e32 v6, 0x3f5db3d7, v19
	v_add_f32_e32 v17, v20, v23
	v_add_f32_e32 v20, v27, v26
	v_fmamk_f32 v19, v21, 0x3f5db3d7, v7
	v_add_f32_e32 v23, v8, v27
	v_fmac_f32_e32 v7, 0xbf5db3d7, v21
	v_add_f32_e32 v21, v22, v33
	v_fma_f32 v8, -0.5, v20, v8
	v_sub_f32_e32 v24, v22, v33
	v_add_f32_e32 v20, v23, v26
	v_add_f32_e32 v23, v9, v22
	v_fma_f32 v9, -0.5, v21, v9
	v_sub_f32_e32 v25, v27, v26
	v_fmamk_f32 v22, v24, 0xbf5db3d7, v8
	v_fmac_f32_e32 v8, 0x3f5db3d7, v24
	v_add_f32_e32 v21, v23, v33
	v_add_f32_e32 v24, v37, v38
	v_fmamk_f32 v23, v25, 0x3f5db3d7, v9
	v_fmac_f32_e32 v9, 0xbf5db3d7, v25
	v_add_f32_e32 v25, v32, v34
	v_add_f32_e32 v26, v10, v37
	v_sub_f32_e32 v27, v32, v34
	v_add_f32_e32 v32, v11, v32
	v_fma_f32 v10, -0.5, v24, v10
	v_fmac_f32_e32 v11, -0.5, v25
	v_sub_f32_e32 v33, v37, v38
	v_add_f32_e32 v24, v26, v38
	v_add_f32_e32 v25, v32, v34
	v_fmamk_f32 v26, v27, 0xbf5db3d7, v10
	v_fmac_f32_e32 v10, 0x3f5db3d7, v27
	v_fmamk_f32 v27, v33, 0x3f5db3d7, v11
	v_fmac_f32_e32 v11, 0xbf5db3d7, v33
	ds_write2_b64 v97, v[12:13], v[16:17] offset1:51
	ds_write2_b64 v50, v[14:15], v[18:19] offset0:93 offset1:144
	ds_write2_b64 v48, v[4:5], v[6:7] offset0:186 offset1:237
	;; [unrolled: 1-line block ×5, first 2 shown]
	s_and_saveexec_b32 s1, s0
	s_cbranch_execz .LBB0_21
; %bb.20:
	v_mul_f32_e32 v4, v29, v2
	v_mul_f32_e32 v5, v31, v81
	;; [unrolled: 1-line block ×4, first 2 shown]
	v_fma_f32 v3, v28, v3, -v4
	v_fma_f32 v4, v30, v82, -v5
	v_fmac_f32_e32 v6, v28, v2
	v_fmac_f32_e32 v7, v30, v81
	v_add_f32_e32 v9, v1, v3
	v_add_f32_e32 v2, v3, v4
	v_sub_f32_e32 v10, v3, v4
	v_add_f32_e32 v5, v6, v7
	v_sub_f32_e32 v8, v6, v7
	v_add_f32_e32 v6, v0, v6
	v_fma_f32 v1, -0.5, v2, v1
	v_add_f32_e32 v3, v9, v4
	v_fma_f32 v0, -0.5, v5, v0
	v_add_f32_e32 v2, v6, v7
	v_fmamk_f32 v5, v8, 0xbf5db3d7, v1
	v_fmac_f32_e32 v1, 0x3f5db3d7, v8
	v_fmamk_f32 v4, v10, 0x3f5db3d7, v0
	v_add_nc_u32_e32 v6, 0x600, v97
	v_fmac_f32_e32 v0, 0xbf5db3d7, v10
	ds_write2_b64 v6, v[2:3], v[0:1] offset0:12 offset1:233
	ds_write_b64 v97, v[4:5] offset:5168
.LBB0_21:
	s_or_b32 exec_lo, exec_lo, s1
	s_waitcnt lgkmcnt(0)
	s_barrier
	buffer_gl0_inv
	s_and_b32 exec_lo, exec_lo, vcc_lo
	s_cbranch_execz .LBB0_23
; %bb.22:
	global_load_dwordx2 v[0:1], v97, s[12:13]
	ds_read_b64 v[2:3], v97
	s_mov_b32 s0, 0x18b64019
	s_mov_b32 s1, 0x3f58b640
	v_mad_u64_u32 v[6:7], null, s4, v98, 0
	s_mul_i32 s2, s5, 0x138
	s_mul_i32 s3, s4, 0x138
	v_add_nc_u32_e32 v12, 0x800, v97
	s_waitcnt vmcnt(0) lgkmcnt(0)
	v_mul_f32_e32 v4, v3, v1
	v_mul_f32_e32 v1, v2, v1
	v_fmac_f32_e32 v4, v2, v0
	v_fma_f32 v2, v0, v3, -v1
	v_cvt_f64_f32_e32 v[0:1], v4
	v_cvt_f64_f32_e32 v[2:3], v2
	v_mad_u64_u32 v[4:5], null, s6, v76, 0
	v_mad_u64_u32 v[8:9], null, s7, v76, v[5:6]
	;; [unrolled: 1-line block ×3, first 2 shown]
	v_mov_b32_e32 v5, v8
	s_mul_hi_u32 s5, s4, 0x138
	v_mul_f64 v[0:1], v[0:1], s[0:1]
	v_mul_f64 v[2:3], v[2:3], s[0:1]
	s_add_i32 s2, s5, s2
	v_add_co_u32 v10, s4, s12, v97
	v_mov_b32_e32 v7, v9
	v_add_co_ci_u32_e64 v11, null, s13, 0, s4
	v_cvt_f32_f64_e32 v0, v[0:1]
	v_cvt_f32_f64_e32 v1, v[2:3]
	v_lshlrev_b64 v[2:3], 3, v[4:5]
	v_lshlrev_b64 v[4:5], 3, v[6:7]
	v_add_co_u32 v2, vcc_lo, s14, v2
	v_add_co_ci_u32_e32 v3, vcc_lo, s15, v3, vcc_lo
	v_add_co_u32 v4, vcc_lo, v2, v4
	v_add_co_ci_u32_e32 v5, vcc_lo, v3, v5, vcc_lo
	global_store_dwordx2 v[4:5], v[0:1], off
	global_load_dwordx2 v[6:7], v97, s[12:13] offset:312
	ds_read2_b64 v[0:3], v97 offset0:39 offset1:78
	v_add_co_u32 v4, vcc_lo, v4, s3
	v_add_co_ci_u32_e32 v5, vcc_lo, s2, v5, vcc_lo
	s_waitcnt vmcnt(0) lgkmcnt(0)
	v_mul_f32_e32 v8, v1, v7
	v_mul_f32_e32 v7, v0, v7
	v_fmac_f32_e32 v8, v0, v6
	v_fma_f32 v6, v6, v1, -v7
	v_cvt_f64_f32_e32 v[0:1], v8
	v_cvt_f64_f32_e32 v[6:7], v6
	v_mul_f64 v[0:1], v[0:1], s[0:1]
	v_mul_f64 v[6:7], v[6:7], s[0:1]
	v_cvt_f32_f64_e32 v0, v[0:1]
	v_cvt_f32_f64_e32 v1, v[6:7]
	global_store_dwordx2 v[4:5], v[0:1], off
	global_load_dwordx2 v[0:1], v97, s[12:13] offset:624
	v_add_co_u32 v4, vcc_lo, v4, s3
	v_add_co_ci_u32_e32 v5, vcc_lo, s2, v5, vcc_lo
	s_waitcnt vmcnt(0)
	v_mul_f32_e32 v6, v3, v1
	v_mul_f32_e32 v1, v2, v1
	v_fmac_f32_e32 v6, v2, v0
	v_fma_f32 v2, v0, v3, -v1
	v_cvt_f64_f32_e32 v[0:1], v6
	v_cvt_f64_f32_e32 v[2:3], v2
	v_mul_f64 v[0:1], v[0:1], s[0:1]
	v_mul_f64 v[2:3], v[2:3], s[0:1]
	v_cvt_f32_f64_e32 v0, v[0:1]
	v_cvt_f32_f64_e32 v1, v[2:3]
	global_store_dwordx2 v[4:5], v[0:1], off
	global_load_dwordx2 v[6:7], v97, s[12:13] offset:936
	ds_read2_b64 v[0:3], v97 offset0:117 offset1:156
	v_add_co_u32 v4, vcc_lo, v4, s3
	v_add_co_ci_u32_e32 v5, vcc_lo, s2, v5, vcc_lo
	s_waitcnt vmcnt(0) lgkmcnt(0)
	v_mul_f32_e32 v8, v1, v7
	v_mul_f32_e32 v7, v0, v7
	v_fmac_f32_e32 v8, v0, v6
	v_fma_f32 v6, v6, v1, -v7
	v_cvt_f64_f32_e32 v[0:1], v8
	v_cvt_f64_f32_e32 v[6:7], v6
	v_mul_f64 v[0:1], v[0:1], s[0:1]
	v_mul_f64 v[6:7], v[6:7], s[0:1]
	v_cvt_f32_f64_e32 v0, v[0:1]
	v_cvt_f32_f64_e32 v1, v[6:7]
	global_store_dwordx2 v[4:5], v[0:1], off
	global_load_dwordx2 v[0:1], v97, s[12:13] offset:1248
	v_add_co_u32 v4, vcc_lo, v4, s3
	v_add_co_ci_u32_e32 v5, vcc_lo, s2, v5, vcc_lo
	s_waitcnt vmcnt(0)
	v_mul_f32_e32 v6, v3, v1
	v_mul_f32_e32 v1, v2, v1
	v_fmac_f32_e32 v6, v2, v0
	v_fma_f32 v2, v0, v3, -v1
	v_cvt_f64_f32_e32 v[0:1], v6
	v_cvt_f64_f32_e32 v[2:3], v2
	v_mul_f64 v[0:1], v[0:1], s[0:1]
	v_mul_f64 v[2:3], v[2:3], s[0:1]
	v_cvt_f32_f64_e32 v0, v[0:1]
	v_cvt_f32_f64_e32 v1, v[2:3]
	global_store_dwordx2 v[4:5], v[0:1], off
	global_load_dwordx2 v[6:7], v97, s[12:13] offset:1560
	ds_read2_b64 v[0:3], v97 offset0:195 offset1:234
	v_add_co_u32 v4, vcc_lo, v4, s3
	v_add_co_ci_u32_e32 v5, vcc_lo, s2, v5, vcc_lo
	s_waitcnt vmcnt(0) lgkmcnt(0)
	v_mul_f32_e32 v8, v1, v7
	v_mul_f32_e32 v7, v0, v7
	v_fmac_f32_e32 v8, v0, v6
	v_fma_f32 v6, v6, v1, -v7
	v_cvt_f64_f32_e32 v[0:1], v8
	v_cvt_f64_f32_e32 v[6:7], v6
	v_mul_f64 v[0:1], v[0:1], s[0:1]
	v_mul_f64 v[6:7], v[6:7], s[0:1]
	v_cvt_f32_f64_e32 v0, v[0:1]
	v_cvt_f32_f64_e32 v1, v[6:7]
	global_store_dwordx2 v[4:5], v[0:1], off
	global_load_dwordx2 v[0:1], v97, s[12:13] offset:1872
	v_add_co_u32 v4, vcc_lo, v4, s3
	v_add_co_ci_u32_e32 v5, vcc_lo, s2, v5, vcc_lo
	s_waitcnt vmcnt(0)
	v_mul_f32_e32 v6, v3, v1
	v_mul_f32_e32 v1, v2, v1
	v_fmac_f32_e32 v6, v2, v0
	v_fma_f32 v2, v0, v3, -v1
	v_cvt_f64_f32_e32 v[0:1], v6
	v_cvt_f64_f32_e32 v[2:3], v2
	v_add_co_u32 v6, vcc_lo, 0x800, v10
	v_add_co_ci_u32_e32 v7, vcc_lo, 0, v11, vcc_lo
	v_mul_f64 v[0:1], v[0:1], s[0:1]
	v_mul_f64 v[2:3], v[2:3], s[0:1]
	v_cvt_f32_f64_e32 v0, v[0:1]
	v_cvt_f32_f64_e32 v1, v[2:3]
	global_store_dwordx2 v[4:5], v[0:1], off
	global_load_dwordx2 v[8:9], v[6:7], off offset:136
	ds_read2_b64 v[0:3], v12 offset0:17 offset1:56
	v_add_co_u32 v4, vcc_lo, v4, s3
	v_add_co_ci_u32_e32 v5, vcc_lo, s2, v5, vcc_lo
	s_waitcnt vmcnt(0) lgkmcnt(0)
	v_mul_f32_e32 v13, v1, v9
	v_mul_f32_e32 v9, v0, v9
	v_fmac_f32_e32 v13, v0, v8
	v_fma_f32 v8, v8, v1, -v9
	v_cvt_f64_f32_e32 v[0:1], v13
	v_cvt_f64_f32_e32 v[8:9], v8
	v_mul_f64 v[0:1], v[0:1], s[0:1]
	v_mul_f64 v[8:9], v[8:9], s[0:1]
	v_cvt_f32_f64_e32 v0, v[0:1]
	v_cvt_f32_f64_e32 v1, v[8:9]
	global_store_dwordx2 v[4:5], v[0:1], off
	global_load_dwordx2 v[0:1], v[6:7], off offset:448
	v_add_co_u32 v4, vcc_lo, v4, s3
	v_add_co_ci_u32_e32 v5, vcc_lo, s2, v5, vcc_lo
	s_waitcnt vmcnt(0)
	v_mul_f32_e32 v8, v3, v1
	v_mul_f32_e32 v1, v2, v1
	v_fmac_f32_e32 v8, v2, v0
	v_fma_f32 v2, v0, v3, -v1
	v_cvt_f64_f32_e32 v[0:1], v8
	v_cvt_f64_f32_e32 v[2:3], v2
	v_mul_f64 v[0:1], v[0:1], s[0:1]
	v_mul_f64 v[2:3], v[2:3], s[0:1]
	v_cvt_f32_f64_e32 v0, v[0:1]
	v_cvt_f32_f64_e32 v1, v[2:3]
	global_store_dwordx2 v[4:5], v[0:1], off
	global_load_dwordx2 v[8:9], v[6:7], off offset:760
	ds_read2_b64 v[0:3], v12 offset0:95 offset1:134
	v_add_co_u32 v4, vcc_lo, v4, s3
	v_add_co_ci_u32_e32 v5, vcc_lo, s2, v5, vcc_lo
	s_waitcnt vmcnt(0) lgkmcnt(0)
	v_mul_f32_e32 v13, v1, v9
	v_mul_f32_e32 v9, v0, v9
	v_fmac_f32_e32 v13, v0, v8
	v_fma_f32 v8, v8, v1, -v9
	v_cvt_f64_f32_e32 v[0:1], v13
	v_cvt_f64_f32_e32 v[8:9], v8
	v_mul_f64 v[0:1], v[0:1], s[0:1]
	v_mul_f64 v[8:9], v[8:9], s[0:1]
	v_cvt_f32_f64_e32 v0, v[0:1]
	v_cvt_f32_f64_e32 v1, v[8:9]
	global_store_dwordx2 v[4:5], v[0:1], off
	global_load_dwordx2 v[0:1], v[6:7], off offset:1072
	v_add_co_u32 v4, vcc_lo, v4, s3
	v_add_co_ci_u32_e32 v5, vcc_lo, s2, v5, vcc_lo
	s_waitcnt vmcnt(0)
	v_mul_f32_e32 v8, v3, v1
	v_mul_f32_e32 v1, v2, v1
	v_fmac_f32_e32 v8, v2, v0
	v_fma_f32 v2, v0, v3, -v1
	v_cvt_f64_f32_e32 v[0:1], v8
	v_cvt_f64_f32_e32 v[2:3], v2
	;; [unrolled: 31-line block ×3, first 2 shown]
	v_mul_f64 v[0:1], v[0:1], s[0:1]
	v_mul_f64 v[2:3], v[2:3], s[0:1]
	v_cvt_f32_f64_e32 v0, v[0:1]
	v_cvt_f32_f64_e32 v1, v[2:3]
	global_store_dwordx2 v[4:5], v[0:1], off
	global_load_dwordx2 v[6:7], v[6:7], off offset:2008
	v_add_nc_u32_e32 v0, 0xc00, v97
	v_add_co_u32 v4, vcc_lo, v4, s3
	v_add_co_ci_u32_e32 v5, vcc_lo, s2, v5, vcc_lo
	ds_read2_b64 v[0:3], v0 offset0:123 offset1:162
	s_waitcnt vmcnt(0) lgkmcnt(0)
	v_mul_f32_e32 v8, v1, v7
	v_mul_f32_e32 v7, v0, v7
	v_fmac_f32_e32 v8, v0, v6
	v_fma_f32 v6, v6, v1, -v7
	v_cvt_f64_f32_e32 v[0:1], v8
	v_cvt_f64_f32_e32 v[6:7], v6
	v_mul_f64 v[0:1], v[0:1], s[0:1]
	v_mul_f64 v[6:7], v[6:7], s[0:1]
	v_cvt_f32_f64_e32 v0, v[0:1]
	v_cvt_f32_f64_e32 v1, v[6:7]
	v_add_co_u32 v6, vcc_lo, 0x1000, v10
	v_add_co_ci_u32_e32 v7, vcc_lo, 0, v11, vcc_lo
	global_store_dwordx2 v[4:5], v[0:1], off
	global_load_dwordx2 v[0:1], v[6:7], off offset:272
	v_add_co_u32 v4, vcc_lo, v4, s3
	v_add_co_ci_u32_e32 v5, vcc_lo, s2, v5, vcc_lo
	s_waitcnt vmcnt(0)
	v_mul_f32_e32 v8, v3, v1
	v_mul_f32_e32 v1, v2, v1
	v_fmac_f32_e32 v8, v2, v0
	v_fma_f32 v2, v0, v3, -v1
	v_cvt_f64_f32_e32 v[0:1], v8
	v_cvt_f64_f32_e32 v[2:3], v2
	v_mul_f64 v[0:1], v[0:1], s[0:1]
	v_mul_f64 v[2:3], v[2:3], s[0:1]
	v_cvt_f32_f64_e32 v0, v[0:1]
	v_cvt_f32_f64_e32 v1, v[2:3]
	global_store_dwordx2 v[4:5], v[0:1], off
	global_load_dwordx2 v[8:9], v[6:7], off offset:584
	v_add_nc_u32_e32 v0, 0x1000, v97
	v_add_co_u32 v4, vcc_lo, v4, s3
	v_add_co_ci_u32_e32 v5, vcc_lo, s2, v5, vcc_lo
	ds_read2_b64 v[0:3], v0 offset0:73 offset1:112
	s_waitcnt vmcnt(0) lgkmcnt(0)
	v_mul_f32_e32 v10, v1, v9
	v_mul_f32_e32 v9, v0, v9
	v_fmac_f32_e32 v10, v0, v8
	v_fma_f32 v8, v8, v1, -v9
	v_cvt_f64_f32_e32 v[0:1], v10
	v_cvt_f64_f32_e32 v[8:9], v8
	v_mul_f64 v[0:1], v[0:1], s[0:1]
	v_mul_f64 v[8:9], v[8:9], s[0:1]
	v_cvt_f32_f64_e32 v0, v[0:1]
	v_cvt_f32_f64_e32 v1, v[8:9]
	global_store_dwordx2 v[4:5], v[0:1], off
	global_load_dwordx2 v[0:1], v[6:7], off offset:896
	s_waitcnt vmcnt(0)
	v_mul_f32_e32 v6, v3, v1
	v_mul_f32_e32 v1, v2, v1
	v_fmac_f32_e32 v6, v2, v0
	v_fma_f32 v2, v0, v3, -v1
	v_cvt_f64_f32_e32 v[0:1], v6
	v_cvt_f64_f32_e32 v[2:3], v2
	v_mul_f64 v[0:1], v[0:1], s[0:1]
	v_mul_f64 v[2:3], v[2:3], s[0:1]
	v_cvt_f32_f64_e32 v0, v[0:1]
	v_cvt_f32_f64_e32 v1, v[2:3]
	v_add_co_u32 v2, vcc_lo, v4, s3
	v_add_co_ci_u32_e32 v3, vcc_lo, s2, v5, vcc_lo
	global_store_dwordx2 v[2:3], v[0:1], off
.LBB0_23:
	s_endpgm
	.section	.rodata,"a",@progbits
	.p2align	6, 0x0
	.amdhsa_kernel bluestein_single_back_len663_dim1_sp_op_CI_CI
		.amdhsa_group_segment_fixed_size 5304
		.amdhsa_private_segment_fixed_size 0
		.amdhsa_kernarg_size 104
		.amdhsa_user_sgpr_count 6
		.amdhsa_user_sgpr_private_segment_buffer 1
		.amdhsa_user_sgpr_dispatch_ptr 0
		.amdhsa_user_sgpr_queue_ptr 0
		.amdhsa_user_sgpr_kernarg_segment_ptr 1
		.amdhsa_user_sgpr_dispatch_id 0
		.amdhsa_user_sgpr_flat_scratch_init 0
		.amdhsa_user_sgpr_private_segment_size 0
		.amdhsa_wavefront_size32 1
		.amdhsa_uses_dynamic_stack 0
		.amdhsa_system_sgpr_private_segment_wavefront_offset 0
		.amdhsa_system_sgpr_workgroup_id_x 1
		.amdhsa_system_sgpr_workgroup_id_y 0
		.amdhsa_system_sgpr_workgroup_id_z 0
		.amdhsa_system_sgpr_workgroup_info 0
		.amdhsa_system_vgpr_workitem_id 0
		.amdhsa_next_free_vgpr 226
		.amdhsa_next_free_sgpr 16
		.amdhsa_reserve_vcc 1
		.amdhsa_reserve_flat_scratch 0
		.amdhsa_float_round_mode_32 0
		.amdhsa_float_round_mode_16_64 0
		.amdhsa_float_denorm_mode_32 3
		.amdhsa_float_denorm_mode_16_64 3
		.amdhsa_dx10_clamp 1
		.amdhsa_ieee_mode 1
		.amdhsa_fp16_overflow 0
		.amdhsa_workgroup_processor_mode 1
		.amdhsa_memory_ordered 1
		.amdhsa_forward_progress 0
		.amdhsa_shared_vgpr_count 0
		.amdhsa_exception_fp_ieee_invalid_op 0
		.amdhsa_exception_fp_denorm_src 0
		.amdhsa_exception_fp_ieee_div_zero 0
		.amdhsa_exception_fp_ieee_overflow 0
		.amdhsa_exception_fp_ieee_underflow 0
		.amdhsa_exception_fp_ieee_inexact 0
		.amdhsa_exception_int_div_zero 0
	.end_amdhsa_kernel
	.text
.Lfunc_end0:
	.size	bluestein_single_back_len663_dim1_sp_op_CI_CI, .Lfunc_end0-bluestein_single_back_len663_dim1_sp_op_CI_CI
                                        ; -- End function
	.section	.AMDGPU.csdata,"",@progbits
; Kernel info:
; codeLenInByte = 22312
; NumSgprs: 18
; NumVgprs: 226
; ScratchSize: 0
; MemoryBound: 0
; FloatMode: 240
; IeeeMode: 1
; LDSByteSize: 5304 bytes/workgroup (compile time only)
; SGPRBlocks: 2
; VGPRBlocks: 28
; NumSGPRsForWavesPerEU: 18
; NumVGPRsForWavesPerEU: 226
; Occupancy: 4
; WaveLimiterHint : 1
; COMPUTE_PGM_RSRC2:SCRATCH_EN: 0
; COMPUTE_PGM_RSRC2:USER_SGPR: 6
; COMPUTE_PGM_RSRC2:TRAP_HANDLER: 0
; COMPUTE_PGM_RSRC2:TGID_X_EN: 1
; COMPUTE_PGM_RSRC2:TGID_Y_EN: 0
; COMPUTE_PGM_RSRC2:TGID_Z_EN: 0
; COMPUTE_PGM_RSRC2:TIDIG_COMP_CNT: 0
	.text
	.p2alignl 6, 3214868480
	.fill 48, 4, 3214868480
	.type	__hip_cuid_a3705e5fd856151a,@object ; @__hip_cuid_a3705e5fd856151a
	.section	.bss,"aw",@nobits
	.globl	__hip_cuid_a3705e5fd856151a
__hip_cuid_a3705e5fd856151a:
	.byte	0                               ; 0x0
	.size	__hip_cuid_a3705e5fd856151a, 1

	.ident	"AMD clang version 19.0.0git (https://github.com/RadeonOpenCompute/llvm-project roc-6.4.0 25133 c7fe45cf4b819c5991fe208aaa96edf142730f1d)"
	.section	".note.GNU-stack","",@progbits
	.addrsig
	.addrsig_sym __hip_cuid_a3705e5fd856151a
	.amdgpu_metadata
---
amdhsa.kernels:
  - .args:
      - .actual_access:  read_only
        .address_space:  global
        .offset:         0
        .size:           8
        .value_kind:     global_buffer
      - .actual_access:  read_only
        .address_space:  global
        .offset:         8
        .size:           8
        .value_kind:     global_buffer
      - .actual_access:  read_only
        .address_space:  global
        .offset:         16
        .size:           8
        .value_kind:     global_buffer
      - .actual_access:  read_only
        .address_space:  global
        .offset:         24
        .size:           8
        .value_kind:     global_buffer
      - .actual_access:  read_only
        .address_space:  global
        .offset:         32
        .size:           8
        .value_kind:     global_buffer
      - .offset:         40
        .size:           8
        .value_kind:     by_value
      - .address_space:  global
        .offset:         48
        .size:           8
        .value_kind:     global_buffer
      - .address_space:  global
        .offset:         56
        .size:           8
        .value_kind:     global_buffer
      - .address_space:  global
        .offset:         64
        .size:           8
        .value_kind:     global_buffer
      - .address_space:  global
        .offset:         72
        .size:           8
        .value_kind:     global_buffer
      - .offset:         80
        .size:           4
        .value_kind:     by_value
      - .address_space:  global
        .offset:         88
        .size:           8
        .value_kind:     global_buffer
      - .address_space:  global
        .offset:         96
        .size:           8
        .value_kind:     global_buffer
    .group_segment_fixed_size: 5304
    .kernarg_segment_align: 8
    .kernarg_segment_size: 104
    .language:       OpenCL C
    .language_version:
      - 2
      - 0
    .max_flat_workgroup_size: 51
    .name:           bluestein_single_back_len663_dim1_sp_op_CI_CI
    .private_segment_fixed_size: 0
    .sgpr_count:     18
    .sgpr_spill_count: 0
    .symbol:         bluestein_single_back_len663_dim1_sp_op_CI_CI.kd
    .uniform_work_group_size: 1
    .uses_dynamic_stack: false
    .vgpr_count:     226
    .vgpr_spill_count: 0
    .wavefront_size: 32
    .workgroup_processor_mode: 1
amdhsa.target:   amdgcn-amd-amdhsa--gfx1030
amdhsa.version:
  - 1
  - 2
...

	.end_amdgpu_metadata
